;; amdgpu-corpus repo=ROCm/vllm kind=compiled arch=gfx1250 opt=O3
	.amdgcn_target "amdgcn-amd-amdhsa--gfx1250"
	.amdhsa_code_object_version 6
	.section	.text._ZN4vllm39rms_norm_dynamic_per_token_quant_kernelIfN3c1013Float8_e4m3fnELb1EEEvPT0_PfPKT_S8_PKffiPS6_,"axG",@progbits,_ZN4vllm39rms_norm_dynamic_per_token_quant_kernelIfN3c1013Float8_e4m3fnELb1EEEvPT0_PfPKT_S8_PKffiPS6_,comdat
	.protected	_ZN4vllm39rms_norm_dynamic_per_token_quant_kernelIfN3c1013Float8_e4m3fnELb1EEEvPT0_PfPKT_S8_PKffiPS6_ ; -- Begin function _ZN4vllm39rms_norm_dynamic_per_token_quant_kernelIfN3c1013Float8_e4m3fnELb1EEEvPT0_PfPKT_S8_PKffiPS6_
	.globl	_ZN4vllm39rms_norm_dynamic_per_token_quant_kernelIfN3c1013Float8_e4m3fnELb1EEEvPT0_PfPKT_S8_PKffiPS6_
	.p2align	8
	.type	_ZN4vllm39rms_norm_dynamic_per_token_quant_kernelIfN3c1013Float8_e4m3fnELb1EEEvPT0_PfPKT_S8_PKffiPS6_,@function
_ZN4vllm39rms_norm_dynamic_per_token_quant_kernelIfN3c1013Float8_e4m3fnELb1EEEvPT0_PfPKT_S8_PKffiPS6_: ; @_ZN4vllm39rms_norm_dynamic_per_token_quant_kernelIfN3c1013Float8_e4m3fnELb1EEEvPT0_PfPKT_S8_PKffiPS6_
; %bb.0:
	s_clause 0x2
	s_load_b128 s[20:23], s[0:1], 0x20
	s_load_b256 s[12:19], s[0:1], 0x0
	s_load_b64 s[30:31], s[0:1], 0x30
	s_mov_b32 s29, 0
	s_getreg_b32 s33, hwreg(HW_REG_IB_STS2, 6, 4)
	s_add_nc_u64 s[24:25], s[0:1], 56
	s_wait_kmcnt 0x0
	s_and_b32 s2, s23, 3
	s_delay_alu instid0(SALU_CYCLE_1)
	s_cmp_lg_u32 s2, 0
	s_cbranch_scc0 .LBB0_33
; %bb.1:
	s_load_b32 s34, s[0:1], 0x38
	s_bfe_u32 s2, ttmp6, 0x4000c
	s_and_b32 s3, ttmp6, 15
	s_add_co_i32 s2, s2, 1
	v_mov_b32_e32 v4, 0
	s_mul_i32 s2, ttmp9, s2
	s_mov_b32 s4, s23
	s_add_co_i32 s3, s3, s2
	s_cmp_eq_u32 s33, 0
	v_cmp_gt_u32_e64 s2, s23, v0
	s_cselect_b32 s28, ttmp9, s3
	s_ashr_i32 s5, s23, 31
	s_delay_alu instid0(SALU_CYCLE_1)
	s_mul_u64 s[26:27], s[4:5], s[28:29]
	s_and_saveexec_b32 s3, s2
	s_cbranch_execz .LBB0_5
; %bb.2:
	s_wait_kmcnt 0x0
	s_cmp_lt_u32 s28, s34
	s_mov_b32 s5, 0
	s_cselect_b32 s4, 12, 18
	v_dual_mov_b32 v3, 0 :: v_dual_mov_b32 v4, 0
	s_add_nc_u64 s[6:7], s[24:25], s[4:5]
	v_mov_b32_e32 v2, v0
	s_load_u16 s4, s[6:7], 0x0
.LBB0_3:                                ; =>This Inner Loop Header: Depth=1
	s_delay_alu instid0(VALU_DEP_1) | instskip(NEXT) | instid1(VALU_DEP_1)
	v_add_nc_u64_e32 v[6:7], s[26:27], v[2:3]
	v_lshlrev_b64_e32 v[6:7], 2, v[6:7]
	s_delay_alu instid0(VALU_DEP_1)
	v_add_nc_u64_e32 v[8:9], s[16:17], v[6:7]
	v_add_nc_u64_e32 v[6:7], s[30:31], v[6:7]
	global_load_b32 v1, v[8:9], off
	global_load_b32 v5, v[6:7], off
	s_wait_loadcnt 0x0
	s_wait_kmcnt 0x0
	v_dual_add_f32 v1, v1, v5 :: v_dual_add_nc_u32 v2, s4, v2
	s_delay_alu instid0(VALU_DEP_1) | instskip(NEXT) | instid1(VALU_DEP_2)
	v_cmp_le_u32_e32 vcc_lo, s23, v2
	v_fmac_f32_e32 v4, v1, v1
	s_or_b32 s5, vcc_lo, s5
	s_delay_alu instid0(SALU_CYCLE_1)
	s_and_not1_b32 exec_lo, exec_lo, s5
	s_cbranch_execnz .LBB0_3
; %bb.4:
	s_or_b32 exec_lo, exec_lo, s5
.LBB0_5:
	s_delay_alu instid0(SALU_CYCLE_1) | instskip(SKIP_3) | instid1(VALU_DEP_2)
	s_or_b32 exec_lo, exec_lo, s3
	v_mbcnt_lo_u32_b32 v1, -1, 0
	s_load_b32 s3, s[24:25], 0xc
	v_and_b32_e32 v3, 0x3c0, v0
	v_cmp_ne_u32_e32 vcc_lo, 63, v1
	v_cmp_eq_u32_e64 s8, 0, v1
	v_dual_add_nc_u32 v5, 1, v1 :: v_dual_lshlrev_b32 v8, 2, v1
	v_add_co_ci_u32_e64 v2, null, 0, v1, vcc_lo
	v_cmp_gt_u32_e32 vcc_lo, 62, v1
	s_delay_alu instid0(VALU_DEP_2)
	v_lshlrev_b32_e32 v7, 2, v2
	v_cndmask_b32_e64 v6, 0, 2, vcc_lo
	v_cmp_gt_u32_e32 vcc_lo, 60, v1
	ds_bpermute_b32 v2, v7, v4
	s_wait_kmcnt 0x0
	s_and_b32 s36, s3, 0xffff
	v_add_lshl_u32 v9, v6, v1, 2
	v_sub_nc_u32_e64 v3, s36, v3 clamp
	v_add_nc_u32_e32 v6, 2, v1
	s_delay_alu instid0(VALU_DEP_2) | instskip(NEXT) | instid1(VALU_DEP_2)
	v_cmp_lt_u32_e64 s3, v5, v3
	v_cmp_lt_u32_e64 s4, v6, v3
	v_add_nc_u32_e32 v6, 4, v1
	v_cndmask_b32_e64 v5, 0, 4, vcc_lo
	v_cmp_gt_u32_e32 vcc_lo, 56, v1
	s_delay_alu instid0(VALU_DEP_3) | instskip(NEXT) | instid1(VALU_DEP_3)
	v_cmp_lt_u32_e64 s5, v6, v3
	v_add_lshl_u32 v10, v5, v1, 2
	v_cndmask_b32_e64 v5, 0, 8, vcc_lo
	v_cmp_gt_u32_e32 vcc_lo, 48, v1
	s_wait_dscnt 0x0
	v_dual_add_nc_u32 v6, 8, v1 :: v_dual_add_f32 v2, v4, v2
	s_delay_alu instid0(VALU_DEP_3) | instskip(SKIP_1) | instid1(VALU_DEP_3)
	v_add_lshl_u32 v11, v5, v1, 2
	v_cndmask_b32_e64 v5, 0, 16, vcc_lo
	v_cmp_lt_u32_e64 s6, v6, v3
	s_delay_alu instid0(VALU_DEP_4) | instskip(NEXT) | instid1(VALU_DEP_3)
	v_cndmask_b32_e64 v2, v4, v2, s3
	v_add_lshl_u32 v12, v5, v1, 2
	v_add_nc_u32_e32 v5, 16, v1
	ds_bpermute_b32 v4, v9, v2
	v_cmp_lt_u32_e64 s7, v5, v3
	v_or_b32_e32 v5, 32, v1
	s_delay_alu instid0(VALU_DEP_1) | instskip(SKIP_2) | instid1(VALU_DEP_1)
	v_cmp_lt_u32_e64 s10, v5, v3
	s_wait_dscnt 0x0
	v_add_f32_e32 v4, v2, v4
	v_cndmask_b32_e64 v2, v2, v4, s4
	ds_bpermute_b32 v4, v10, v2
	s_wait_dscnt 0x0
	v_add_f32_e32 v4, v2, v4
	s_delay_alu instid0(VALU_DEP_1) | instskip(SKIP_3) | instid1(VALU_DEP_1)
	v_cndmask_b32_e64 v2, v2, v4, s5
	ds_bpermute_b32 v4, v11, v2
	s_wait_dscnt 0x0
	v_add_f32_e32 v4, v2, v4
	v_cndmask_b32_e64 v2, v2, v4, s6
	ds_bpermute_b32 v4, v12, v2
	s_wait_dscnt 0x0
	v_add_f32_e32 v4, v2, v4
	s_delay_alu instid0(VALU_DEP_1) | instskip(SKIP_3) | instid1(VALU_DEP_1)
	v_cndmask_b32_e64 v2, v2, v4, s7
	ds_bpermute_b32 v4, v8, v2 offset:128
	s_wait_dscnt 0x0
	v_add_f32_e32 v4, v2, v4
	v_cndmask_b32_e64 v2, v2, v4, s10
	s_and_saveexec_b32 s9, s8
; %bb.6:
	v_lshrrev_b32_e32 v3, 4, v0
	s_delay_alu instid0(VALU_DEP_1)
	v_and_b32_e32 v3, 60, v3
	ds_store_b32 v3, v2 offset:128
; %bb.7:
	s_or_b32 exec_lo, exec_lo, s9
	v_cmp_gt_u32_e64 s9, 16, v0
	v_and_b32_e32 v4, 15, v1
	v_or_b32_e32 v5, 32, v8
	s_wait_dscnt 0x0
	s_barrier_signal -1
	s_barrier_wait -1
	s_and_saveexec_b32 s35, s9
	s_cbranch_execz .LBB0_9
; %bb.8:
	ds_load_b32 v2, v8 offset:128
	v_cmp_ne_u32_e32 vcc_lo, 15, v4
	s_add_co_i32 s11, s36, 63
	v_add_nc_u32_e32 v13, 1, v4
	s_lshr_b32 s37, s11, 6
	v_cmp_gt_u32_e64 s11, 12, v4
	v_add_co_ci_u32_e64 v3, null, 0, v1, vcc_lo
	v_cmp_gt_u32_e32 vcc_lo, 14, v4
	s_delay_alu instid0(VALU_DEP_3) | instskip(NEXT) | instid1(VALU_DEP_3)
	v_cndmask_b32_e64 v14, 0, 4, s11
	v_lshlrev_b32_e32 v3, 2, v3
	v_cndmask_b32_e64 v6, 0, 2, vcc_lo
	v_cmp_gt_u32_e32 vcc_lo, s37, v13
	v_add_nc_u32_e32 v13, 2, v4
	s_delay_alu instid0(VALU_DEP_3)
	v_add_lshl_u32 v6, v6, v1, 2
	s_wait_dscnt 0x0
	ds_bpermute_b32 v3, v3, v2
	v_cmp_gt_u32_e64 s11, s37, v13
	s_wait_dscnt 0x0
	v_dual_add_nc_u32 v13, 4, v4 :: v_dual_add_f32 v3, v2, v3
	s_delay_alu instid0(VALU_DEP_1) | instskip(SKIP_3) | instid1(VALU_DEP_1)
	v_cndmask_b32_e32 v3, v2, v3, vcc_lo
	ds_bpermute_b32 v6, v6, v3
	s_wait_dscnt 0x0
	v_add_f32_e32 v6, v3, v6
	v_cndmask_b32_e64 v3, v3, v6, s11
	v_add_lshl_u32 v6, v14, v1, 2
	v_cmp_gt_u32_e64 s11, s37, v13
	v_add_nc_u32_e32 v13, 8, v4
	ds_bpermute_b32 v6, v6, v3
	s_wait_dscnt 0x0
	v_add_f32_e32 v6, v3, v6
	s_delay_alu instid0(VALU_DEP_1) | instskip(SKIP_4) | instid1(VALU_DEP_1)
	v_cndmask_b32_e64 v3, v3, v6, s11
	v_cmp_gt_u32_e64 s11, s37, v13
	ds_bpermute_b32 v6, v5, v3
	s_wait_dscnt 0x0
	v_add_f32_e32 v6, v3, v6
	v_cndmask_b32_e64 v3, v3, v6, s11
	s_delay_alu instid0(VALU_DEP_1)
	v_cndmask_b32_e32 v2, v2, v3, vcc_lo
.LBB0_9:
	s_or_b32 exec_lo, exec_lo, s35
	v_cmp_eq_u32_e64 s11, 0, v0
	s_and_saveexec_b32 s35, s11
	s_cbranch_execz .LBB0_11
; %bb.10:
	s_cvt_f32_i32 s37, s23
	s_delay_alu instid0(SALU_CYCLE_3) | instskip(SKIP_1) | instid1(VALU_DEP_2)
	v_div_scale_f32 v3, null, s37, s37, v2
	v_div_scale_f32 v14, vcc_lo, v2, s37, v2
	v_rcp_f32_e32 v6, v3
	v_nop
	s_delay_alu instid0(TRANS32_DEP_1) | instskip(NEXT) | instid1(VALU_DEP_1)
	v_fma_f32 v13, -v3, v6, 1.0
	v_fmac_f32_e32 v6, v13, v6
	s_delay_alu instid0(VALU_DEP_1) | instskip(NEXT) | instid1(VALU_DEP_1)
	v_mul_f32_e32 v13, v14, v6
	v_fma_f32 v15, -v3, v13, v14
	s_delay_alu instid0(VALU_DEP_1) | instskip(NEXT) | instid1(VALU_DEP_1)
	v_fmac_f32_e32 v13, v15, v6
	v_fma_f32 v3, -v3, v13, v14
	s_delay_alu instid0(VALU_DEP_1) | instskip(NEXT) | instid1(VALU_DEP_1)
	v_div_fmas_f32 v3, v3, v6, v13
	v_div_fixup_f32 v2, v3, s37, v2
	s_delay_alu instid0(VALU_DEP_1) | instskip(NEXT) | instid1(VALU_DEP_1)
	v_add_f32_e32 v2, s22, v2
	v_mul_f32_e32 v3, 0x4b800000, v2
	v_cmp_gt_f32_e32 vcc_lo, 0x800000, v2
	s_delay_alu instid0(VALU_DEP_2) | instskip(NEXT) | instid1(VALU_DEP_1)
	v_cndmask_b32_e32 v2, v2, v3, vcc_lo
	v_rsq_f32_e32 v2, v2
	v_nop
	s_delay_alu instid0(TRANS32_DEP_1) | instskip(NEXT) | instid1(VALU_DEP_1)
	v_mul_f32_e32 v3, 0x45800000, v2
	v_dual_cndmask_b32 v2, v2, v3 :: v_dual_mov_b32 v3, 0
	ds_store_b32 v3, v2 offset:264
.LBB0_11:
	s_or_b32 exec_lo, exec_lo, s35
	v_mov_b32_e32 v13, 0
	s_wait_dscnt 0x0
	s_barrier_signal -1
	s_barrier_wait -1
	ds_load_b32 v6, v13 offset:264
	s_and_saveexec_b32 s37, s2
	s_cbranch_execz .LBB0_15
; %bb.12:
	s_cmp_lt_u32 s28, s34
	s_mov_b32 s35, 0
	s_cselect_b32 s34, 12, 18
	v_dual_mov_b32 v3, 0 :: v_dual_mov_b32 v13, 0
	s_add_nc_u64 s[38:39], s[24:25], s[34:35]
	v_mov_b32_e32 v2, v0
	s_load_u16 s34, s[38:39], 0x0
.LBB0_13:                               ; =>This Inner Loop Header: Depth=1
	s_delay_alu instid0(VALU_DEP_1) | instskip(NEXT) | instid1(VALU_DEP_2)
	v_add_nc_u64_e32 v[14:15], s[26:27], v[2:3]
	v_max_num_f32_e32 v13, v13, v13
	s_delay_alu instid0(VALU_DEP_2) | instskip(NEXT) | instid1(VALU_DEP_1)
	v_lshlrev_b64_e32 v[14:15], 2, v[14:15]
	v_add_nc_u64_e32 v[16:17], s[16:17], v[14:15]
	v_add_nc_u64_e32 v[14:15], s[30:31], v[14:15]
	global_load_b32 v18, v[16:17], off
	global_load_b32 v19, v[14:15], off
	global_load_b32 v20, v2, s[18:19] scale_offset
	s_wait_kmcnt 0x0
	v_add_nc_u32_e32 v2, s34, v2
	s_delay_alu instid0(VALU_DEP_1) | instskip(SKIP_4) | instid1(VALU_DEP_1)
	v_cmp_le_u32_e32 vcc_lo, s23, v2
	s_or_b32 s35, vcc_lo, s35
	s_wait_loadcnt 0x1
	v_add_f32_e32 v14, v18, v19
	s_wait_dscnt 0x0
	v_mul_f32_e32 v14, v6, v14
	s_wait_loadcnt 0x0
	s_delay_alu instid0(VALU_DEP_1) | instskip(NEXT) | instid1(VALU_DEP_1)
	v_mul_f32_e32 v14, v20, v14
	v_max_num_f32_e64 v13, v13, |v14|
	s_and_not1_b32 exec_lo, exec_lo, s35
	s_cbranch_execnz .LBB0_13
; %bb.14:
	s_or_b32 exec_lo, exec_lo, s35
.LBB0_15:
	s_delay_alu instid0(SALU_CYCLE_1)
	s_or_b32 exec_lo, exec_lo, s37
	ds_bpermute_b32 v3, v7, v13
	v_or_b32_e32 v2, 0x80, v8
	s_wait_dscnt 0x0
	v_cmp_lt_f32_e32 vcc_lo, v13, v3
	v_cndmask_b32_e32 v3, v13, v3, vcc_lo
	s_delay_alu instid0(VALU_DEP_1) | instskip(SKIP_1) | instid1(SALU_CYCLE_1)
	v_cndmask_b32_e64 v3, v13, v3, s3
	s_or_b32 s3, s3, s4
	s_or_b32 s3, s5, s3
	s_delay_alu instid0(SALU_CYCLE_1)
	s_or_b32 s3, s6, s3
	ds_bpermute_b32 v7, v9, v3
	s_or_b32 s3, s7, s3
	s_wait_dscnt 0x0
	v_cmp_lt_f32_e32 vcc_lo, v3, v7
	v_cndmask_b32_e32 v7, v3, v7, vcc_lo
	s_delay_alu instid0(VALU_DEP_1) | instskip(SKIP_4) | instid1(VALU_DEP_1)
	v_cndmask_b32_e64 v3, v3, v7, s4
	ds_bpermute_b32 v7, v10, v3
	s_wait_dscnt 0x0
	v_cmp_lt_f32_e32 vcc_lo, v3, v7
	v_cndmask_b32_e32 v7, v3, v7, vcc_lo
	v_cndmask_b32_e64 v3, v3, v7, s5
	ds_bpermute_b32 v7, v11, v3
	s_wait_dscnt 0x0
	v_cmp_lt_f32_e32 vcc_lo, v3, v7
	v_cndmask_b32_e32 v7, v3, v7, vcc_lo
	s_delay_alu instid0(VALU_DEP_1) | instskip(SKIP_4) | instid1(VALU_DEP_1)
	v_cndmask_b32_e64 v3, v3, v7, s6
	ds_bpermute_b32 v7, v12, v3
	s_wait_dscnt 0x0
	v_cmp_lt_f32_e32 vcc_lo, v3, v7
	v_cndmask_b32_e32 v7, v3, v7, vcc_lo
	v_cndmask_b32_e64 v3, v3, v7, s7
	ds_bpermute_b32 v2, v2, v3
	s_wait_dscnt 0x0
	v_cmp_lt_f32_e32 vcc_lo, v3, v2
	s_and_b32 vcc_lo, s10, vcc_lo
	v_cndmask_b32_e32 v2, v3, v2, vcc_lo
	s_or_b32 vcc_lo, s10, s3
	s_delay_alu instid0(VALU_DEP_1)
	v_cndmask_b32_e32 v2, v13, v2, vcc_lo
	s_and_saveexec_b32 s3, s8
; %bb.16:
	v_lshrrev_b32_e32 v3, 4, v0
	s_delay_alu instid0(VALU_DEP_1)
	v_and_b32_e32 v3, 60, v3
	ds_store_b32 v3, v2 offset:192
; %bb.17:
	s_or_b32 exec_lo, exec_lo, s3
	s_wait_dscnt 0x0
	s_barrier_signal -1
	s_barrier_wait -1
	s_and_saveexec_b32 s5, s9
	s_cbranch_execz .LBB0_19
; %bb.18:
	ds_load_b32 v2, v8 offset:192
	v_cmp_ne_u32_e32 vcc_lo, 15, v4
	s_add_co_i32 s3, s36, 63
	v_add_nc_u32_e32 v7, 1, v4
	s_lshr_b32 s4, s3, 6
	v_cmp_gt_u32_e64 s3, 12, v4
	v_add_co_ci_u32_e64 v3, null, 0, v1, vcc_lo
	v_cmp_gt_u32_e32 vcc_lo, 14, v4
	s_delay_alu instid0(VALU_DEP_3) | instskip(NEXT) | instid1(VALU_DEP_3)
	v_cndmask_b32_e64 v9, 0, 4, s3
	v_lshlrev_b32_e32 v3, 2, v3
	v_cndmask_b32_e64 v8, 0, 2, vcc_lo
	s_delay_alu instid0(VALU_DEP_1) | instskip(NEXT) | instid1(VALU_DEP_4)
	v_add_lshl_u32 v8, v8, v1, 2
	v_add_lshl_u32 v1, v9, v1, 2
	s_wait_dscnt 0x0
	ds_bpermute_b32 v3, v3, v2
	s_wait_dscnt 0x0
	v_cmp_lt_f32_e32 vcc_lo, v2, v3
	v_cndmask_b32_e32 v3, v2, v3, vcc_lo
	v_cmp_gt_u32_e32 vcc_lo, s4, v7
	s_delay_alu instid0(VALU_DEP_2) | instskip(SKIP_4) | instid1(VALU_DEP_1)
	v_cndmask_b32_e32 v3, v2, v3, vcc_lo
	ds_bpermute_b32 v7, v8, v3
	v_add_nc_u32_e32 v8, 2, v4
	s_wait_dscnt 0x0
	v_cmp_lt_f32_e64 s3, v3, v7
	v_cndmask_b32_e64 v7, v3, v7, s3
	s_delay_alu instid0(VALU_DEP_3) | instskip(NEXT) | instid1(VALU_DEP_1)
	v_cmp_gt_u32_e64 s3, s4, v8
	v_dual_cndmask_b32 v3, v3, v7, s3 :: v_dual_add_nc_u32 v7, 4, v4
	v_add_nc_u32_e32 v4, 8, v4
	ds_bpermute_b32 v1, v1, v3
	s_wait_dscnt 0x0
	v_cmp_lt_f32_e64 s3, v3, v1
	s_delay_alu instid0(VALU_DEP_1) | instskip(SKIP_1) | instid1(VALU_DEP_1)
	v_cndmask_b32_e64 v1, v3, v1, s3
	v_cmp_gt_u32_e64 s3, s4, v7
	v_cndmask_b32_e64 v1, v3, v1, s3
	v_cmp_gt_u32_e64 s3, s4, v4
	ds_bpermute_b32 v3, v5, v1
	s_wait_dscnt 0x0
	v_cmp_lt_f32_e64 s4, v1, v3
	s_and_b32 s3, s3, s4
	s_delay_alu instid0(SALU_CYCLE_1) | instskip(NEXT) | instid1(VALU_DEP_1)
	v_cndmask_b32_e64 v1, v1, v3, s3
	v_cndmask_b32_e32 v2, v2, v1, vcc_lo
.LBB0_19:
	s_or_b32 exec_lo, exec_lo, s5
	s_and_saveexec_b32 s3, s11
	s_cbranch_execz .LBB0_23
; %bb.20:
	s_cmp_eq_u64 s[20:21], 0
	s_cbranch_scc1 .LBB0_22
; %bb.21:
	s_load_b32 s4, s[20:21], 0x0
	v_max_num_f32_e32 v1, v2, v2
	s_wait_kmcnt 0x0
	v_max_num_f32_e64 v2, s4, s4
	s_delay_alu instid0(VALU_DEP_1)
	v_min_num_f32_e32 v2, v1, v2
.LBB0_22:
	s_delay_alu instid0(VALU_DEP_1)
	v_div_scale_f32 v1, null, 0x43e00000, 0x43e00000, v2
	v_div_scale_f32 v5, vcc_lo, v2, 0x43e00000, v2
	s_lshl_b64 s[4:5], s[28:29], 2
	v_rcp_f32_e32 v3, v1
	s_add_nc_u64 s[4:5], s[14:15], s[4:5]
	v_nop
	s_delay_alu instid0(TRANS32_DEP_1) | instskip(NEXT) | instid1(VALU_DEP_1)
	v_fma_f32 v4, -v1, v3, 1.0
	v_fmac_f32_e32 v3, v4, v3
	s_delay_alu instid0(VALU_DEP_1) | instskip(NEXT) | instid1(VALU_DEP_1)
	v_mul_f32_e32 v4, v5, v3
	v_fma_f32 v7, -v1, v4, v5
	s_delay_alu instid0(VALU_DEP_1) | instskip(NEXT) | instid1(VALU_DEP_1)
	v_fmac_f32_e32 v4, v7, v3
	v_fma_f32 v1, -v1, v4, v5
	s_delay_alu instid0(VALU_DEP_1) | instskip(NEXT) | instid1(VALU_DEP_1)
	v_div_fmas_f32 v1, v1, v3, v4
	v_div_fixup_f32 v1, v1, 0x43e00000, v2
	s_delay_alu instid0(VALU_DEP_1)
	v_dual_mov_b32 v2, 0 :: v_dual_max_num_f32 v1, 0x36924925, v1
	ds_store_b32 v2, v1 offset:268
	global_store_b32 v2, v1, s[4:5]
.LBB0_23:
	s_wait_xcnt 0x0
	s_or_b32 exec_lo, exec_lo, s3
	s_wait_storecnt_dscnt 0x0
	s_barrier_signal -1
	s_barrier_wait -1
	s_and_saveexec_b32 s3, s2
	s_cbranch_execz .LBB0_32
; %bb.24:
	v_dual_mov_b32 v3, 0 :: v_dual_mov_b32 v2, v0
	s_mov_b32 s2, 0
	s_mov_b32 s4, 0x43e00000
	ds_load_b32 v1, v3 offset:268
	s_branch .LBB0_27
.LBB0_25:                               ;   in Loop: Header=BB0_27 Depth=1
	s_or_b32 exec_lo, exec_lo, s6
.LBB0_26:                               ;   in Loop: Header=BB0_27 Depth=1
	s_delay_alu instid0(SALU_CYCLE_1) | instskip(SKIP_2) | instid1(VALU_DEP_2)
	s_or_b32 exec_lo, exec_lo, s5
	v_dual_add_nc_u32 v2, s36, v2 :: v_dual_lshrrev_b32 v7, 24, v7
	v_add_nc_u64_e32 v[4:5], s[12:13], v[4:5]
	v_cmp_le_u32_e32 vcc_lo, s23, v2
	s_delay_alu instid0(VALU_DEP_3)
	v_and_or_b32 v7, 0x80, v7, v8
	s_or_b32 s2, vcc_lo, s2
	global_store_b8 v[4:5], v7, off
	s_wait_xcnt 0x0
	s_and_not1_b32 exec_lo, exec_lo, s2
	s_cbranch_execz .LBB0_32
.LBB0_27:                               ; =>This Inner Loop Header: Depth=1
	v_add_nc_u64_e32 v[4:5], s[26:27], v[2:3]
	s_mov_b32 s5, exec_lo
	s_delay_alu instid0(VALU_DEP_1) | instskip(NEXT) | instid1(VALU_DEP_1)
	v_lshlrev_b64_e32 v[8:9], 2, v[4:5]
	v_add_nc_u64_e32 v[10:11], s[16:17], v[8:9]
	v_add_nc_u64_e32 v[12:13], s[30:31], v[8:9]
	global_load_b32 v7, v[10:11], off
	global_load_b32 v8, v[12:13], off
	global_load_b32 v9, v2, s[18:19] scale_offset
	s_wait_loadcnt 0x1
	s_wait_xcnt 0x2
	v_add_f32_e32 v10, v7, v8
	s_delay_alu instid0(VALU_DEP_1) | instskip(SKIP_1) | instid1(VALU_DEP_1)
	v_mul_f32_e32 v7, v6, v10
	s_wait_loadcnt 0x0
	v_mul_f32_e32 v7, v7, v9
	global_store_b32 v[12:13], v10, off
	s_wait_dscnt 0x0
	v_div_scale_f32 v8, null, v1, v1, v7
	v_div_scale_f32 v14, vcc_lo, v7, v1, v7
	s_delay_alu instid0(VALU_DEP_2) | instskip(SKIP_1) | instid1(TRANS32_DEP_1)
	v_rcp_f32_e32 v9, v8
	v_nop
	v_fma_f32 v11, -v8, v9, 1.0
	s_delay_alu instid0(VALU_DEP_1) | instskip(NEXT) | instid1(VALU_DEP_1)
	v_fmac_f32_e32 v9, v11, v9
	v_mul_f32_e32 v11, v14, v9
	s_delay_alu instid0(VALU_DEP_1) | instskip(NEXT) | instid1(VALU_DEP_1)
	v_fma_f32 v15, -v8, v11, v14
	v_fmac_f32_e32 v11, v15, v9
	s_delay_alu instid0(VALU_DEP_1) | instskip(NEXT) | instid1(VALU_DEP_1)
	v_fma_f32 v8, -v8, v11, v14
	v_div_fmas_f32 v8, v8, v9, v11
	s_delay_alu instid0(VALU_DEP_1) | instskip(SKIP_1) | instid1(VALU_DEP_2)
	v_div_fixup_f32 v7, v8, v1, v7
	v_mov_b32_e32 v8, 0x7f
	v_minmax_num_f32 v7, v7, s4, 0xc3e00000
	s_delay_alu instid0(VALU_DEP_1) | instskip(SKIP_1) | instid1(VALU_DEP_1)
	v_and_b32_e32 v9, 0x7fffffff, v7
	s_wait_xcnt 0x0
	v_cmpx_gt_u32_e32 0x43f00000, v9
	s_cbranch_execz .LBB0_26
; %bb.28:                               ;   in Loop: Header=BB0_27 Depth=1
	s_mov_b32 s6, exec_lo
                                        ; implicit-def: $vgpr8
	v_cmpx_lt_u32_e32 0x3c7fffff, v9
	s_xor_b32 s6, exec_lo, s6
; %bb.29:                               ;   in Loop: Header=BB0_27 Depth=1
	v_bfe_u32 v8, v7, 20, 1
	s_delay_alu instid0(VALU_DEP_1) | instskip(NEXT) | instid1(VALU_DEP_1)
	v_add3_u32 v8, v7, v8, 0x407ffff
	v_lshrrev_b32_e32 v8, 20, v8
; %bb.30:                               ;   in Loop: Header=BB0_27 Depth=1
	s_and_not1_saveexec_b32 s6, s6
	s_cbranch_execz .LBB0_25
; %bb.31:                               ;   in Loop: Header=BB0_27 Depth=1
	v_add_f32_e64 v8, 0x46800000, |v7|
	s_branch .LBB0_25
.LBB0_32:
	s_or_b32 exec_lo, exec_lo, s3
	s_branch .LBB0_173
.LBB0_33:
	s_cbranch_execz .LBB0_173
; %bb.34:
	s_load_b32 s1, s[0:1], 0x38
	s_bfe_u32 s2, ttmp6, 0x4000c
	s_wait_xcnt 0x0
	s_and_b32 s0, ttmp6, 15
	s_add_co_i32 s2, s2, 1
	s_mov_b32 s29, 0
	s_mul_i32 s2, ttmp9, s2
	v_mov_b32_e32 v2, 0
	s_add_co_i32 s0, s0, s2
	s_cmp_eq_u32 s33, 0
	s_mov_b32 s2, s23
	s_cselect_b32 s28, ttmp9, s0
	s_ashr_i32 s3, s23, 31
	s_ashr_i32 s33, s23, 2
	s_mul_u64 s[26:27], s[2:3], s[28:29]
	v_cmp_gt_u32_e64 s0, s33, v0
	s_lshl_b64 s[2:3], s[26:27], 2
	s_delay_alu instid0(SALU_CYCLE_1)
	s_add_nc_u64 s[10:11], s[16:17], s[2:3]
	s_add_nc_u64 s[16:17], s[30:31], s[2:3]
	s_and_saveexec_b32 s2, s0
	s_cbranch_execz .LBB0_44
; %bb.35:
	s_wait_kmcnt 0x0
	s_cmp_lt_u32 s28, s1
	s_mov_b32 s5, s29
	s_cselect_b32 s4, 12, 18
	v_dual_mov_b32 v2, 0 :: v_dual_mov_b32 v1, v0
	s_add_nc_u64 s[4:5], s[24:25], s[4:5]
	s_mov_b32 s6, s29
	s_load_u16 s3, s[4:5], 0x0
                                        ; implicit-def: $sgpr8
	s_wait_kmcnt 0x0
	s_lshl_b32 s4, s3, 1
	s_mul_i32 s5, s3, 3
	s_add_co_i32 s7, s3, s3
	s_branch .LBB0_39
.LBB0_36:                               ;   in Loop: Header=BB0_39 Depth=1
	s_or_b32 exec_lo, exec_lo, s31
	s_delay_alu instid0(SALU_CYCLE_1)
	s_or_not1_b32 s31, s34, exec_lo
.LBB0_37:                               ;   in Loop: Header=BB0_39 Depth=1
	s_or_b32 exec_lo, exec_lo, s30
	s_delay_alu instid0(SALU_CYCLE_1) | instskip(SKIP_1) | instid1(SALU_CYCLE_1)
	s_and_not1_b32 s8, s8, exec_lo
	s_and_b32 s30, s31, exec_lo
	s_or_b32 s8, s8, s30
.LBB0_38:                               ;   in Loop: Header=BB0_39 Depth=1
	s_or_b32 exec_lo, exec_lo, s9
	s_delay_alu instid0(SALU_CYCLE_1) | instskip(NEXT) | instid1(SALU_CYCLE_1)
	s_and_b32 s9, exec_lo, s8
	s_or_b32 s6, s9, s6
	s_delay_alu instid0(SALU_CYCLE_1)
	s_and_not1_b32 exec_lo, exec_lo, s6
	s_cbranch_execz .LBB0_43
.LBB0_39:                               ; =>This Inner Loop Header: Depth=1
	s_clause 0x1
	global_load_b128 v[4:7], v1, s[10:11] scale_offset
	global_load_b128 v[8:11], v1, s[16:17] scale_offset
	s_or_b32 s8, s8, exec_lo
	s_mov_b32 s9, exec_lo
	v_add_nc_u32_e32 v3, s3, v1
	s_wait_loadcnt 0x0
	v_pk_add_f32 v[4:5], v[4:5], v[8:9]
	v_pk_add_f32 v[6:7], v[6:7], v[10:11]
	s_delay_alu instid0(VALU_DEP_2) | instskip(NEXT) | instid1(VALU_DEP_2)
	v_pk_mul_f32 v[4:5], v[4:5], v[4:5]
	v_pk_mul_f32 v[6:7], v[6:7], v[6:7]
	s_delay_alu instid0(VALU_DEP_2) | instskip(NEXT) | instid1(VALU_DEP_1)
	v_add_f32_e32 v2, v2, v4
	v_add_f32_e32 v2, v2, v5
	s_delay_alu instid0(VALU_DEP_1) | instskip(NEXT) | instid1(VALU_DEP_1)
	v_add_f32_e32 v2, v2, v6
	v_add_f32_e32 v2, v2, v7
	s_wait_xcnt 0x0
	v_cmpx_gt_u32_e64 s33, v3
	s_cbranch_execz .LBB0_38
; %bb.40:                               ;   in Loop: Header=BB0_39 Depth=1
	s_clause 0x1
	global_load_b128 v[4:7], v3, s[10:11] scale_offset
	global_load_b128 v[8:11], v3, s[16:17] scale_offset
	s_mov_b32 s31, -1
	s_mov_b32 s30, exec_lo
	s_wait_loadcnt 0x0
	v_pk_add_f32 v[4:5], v[4:5], v[8:9]
	v_pk_add_f32 v[6:7], v[6:7], v[10:11]
	s_delay_alu instid0(VALU_DEP_2) | instskip(NEXT) | instid1(VALU_DEP_2)
	v_pk_mul_f32 v[4:5], v[4:5], v[4:5]
	v_pk_mul_f32 v[6:7], v[6:7], v[6:7]
	s_delay_alu instid0(VALU_DEP_2) | instskip(NEXT) | instid1(VALU_DEP_1)
	v_dual_add_f32 v2, v2, v4 :: v_dual_add_nc_u32 v4, s4, v1
	v_add_f32_e32 v2, v2, v5
	s_delay_alu instid0(VALU_DEP_1) | instskip(NEXT) | instid1(VALU_DEP_1)
	v_add_f32_e32 v2, v2, v6
	v_add_f32_e32 v2, v2, v7
	s_wait_xcnt 0x0
	v_cmpx_gt_u32_e64 s33, v4
	s_cbranch_execz .LBB0_37
; %bb.41:                               ;   in Loop: Header=BB0_39 Depth=1
	s_clause 0x1
	global_load_b128 v[6:9], v4, s[10:11] scale_offset
	global_load_b128 v[10:13], v4, s[16:17] scale_offset
	s_mov_b32 s34, -1
	s_mov_b32 s31, exec_lo
	s_wait_loadcnt 0x0
	v_pk_add_f32 v[4:5], v[6:7], v[10:11]
	v_pk_add_f32 v[6:7], v[8:9], v[12:13]
	s_delay_alu instid0(VALU_DEP_2) | instskip(NEXT) | instid1(VALU_DEP_2)
	v_pk_mul_f32 v[4:5], v[4:5], v[4:5]
	v_pk_mul_f32 v[6:7], v[6:7], v[6:7]
	s_delay_alu instid0(VALU_DEP_2) | instskip(NEXT) | instid1(VALU_DEP_1)
	v_dual_add_f32 v2, v2, v4 :: v_dual_add_nc_u32 v4, s5, v1
                                        ; implicit-def: $vgpr1
	v_add_f32_e32 v2, v2, v5
	s_delay_alu instid0(VALU_DEP_1) | instskip(NEXT) | instid1(VALU_DEP_1)
	v_add_f32_e32 v2, v2, v6
	v_add_f32_e32 v2, v2, v7
	s_delay_alu instid0(VALU_DEP_4)
	v_cmpx_gt_u32_e64 s33, v4
	s_xor_b32 s31, exec_lo, s31
	s_cbranch_execz .LBB0_36
; %bb.42:                               ;   in Loop: Header=BB0_39 Depth=1
	s_clause 0x1
	global_load_b128 v[6:9], v4, s[10:11] scale_offset
	global_load_b128 v[10:13], v4, s[16:17] scale_offset
	s_wait_loadcnt 0x0
	v_pk_add_f32 v[4:5], v[6:7], v[10:11]
	v_pk_add_f32 v[6:7], v[8:9], v[12:13]
	s_delay_alu instid0(VALU_DEP_2) | instskip(NEXT) | instid1(VALU_DEP_1)
	v_pk_mul_f32 v[4:5], v[4:5], v[4:5]
	v_add_f32_e32 v1, v2, v4
	s_delay_alu instid0(VALU_DEP_1) | instskip(NEXT) | instid1(VALU_DEP_4)
	v_add_f32_e32 v2, v1, v5
	v_pk_mul_f32 v[4:5], v[6:7], v[6:7]
	v_add3_u32 v1, s7, s3, v3
	s_delay_alu instid0(VALU_DEP_2) | instskip(NEXT) | instid1(VALU_DEP_2)
	v_add_f32_e32 v2, v2, v4
	v_cmp_le_u32_e32 vcc_lo, s33, v1
	s_delay_alu instid0(VALU_DEP_2)
	v_add_f32_e32 v2, v2, v5
	s_or_not1_b32 s34, vcc_lo, exec_lo
	s_branch .LBB0_36
.LBB0_43:
	s_or_b32 exec_lo, exec_lo, s6
.LBB0_44:
	s_delay_alu instid0(SALU_CYCLE_1)
	s_or_b32 exec_lo, exec_lo, s2
	v_mbcnt_lo_u32_b32 v1, -1, 0
	s_wait_kmcnt 0x0
	s_cmp_lt_u32 s28, s1
	s_mov_b32 s3, 0
	s_cselect_b32 s2, 12, 18
	v_and_b32_e32 v5, 0x3c0, v0
	v_cmp_ne_u32_e32 vcc_lo, 63, v1
	s_add_nc_u64 s[2:3], s[24:25], s[2:3]
	v_cmp_eq_u32_e64 s6, 0, v1
	s_load_u16 s24, s[2:3], 0x0
	v_add_nc_u32_e32 v6, 1, v1
	v_add_co_ci_u32_e64 v3, null, 0, v1, vcc_lo
	v_cmp_gt_u32_e32 vcc_lo, 62, v1
	s_delay_alu instid0(VALU_DEP_2)
	v_lshlrev_b32_e32 v3, 2, v3
	v_cndmask_b32_e64 v7, 0, 2, vcc_lo
	v_cmp_gt_u32_e32 vcc_lo, 60, v1
	ds_bpermute_b32 v4, v3, v2
	s_wait_kmcnt 0x0
	v_sub_nc_u32_e64 v8, s24, v5 clamp
	s_delay_alu instid0(VALU_DEP_1)
	v_cmp_lt_u32_e64 s1, v6, v8
	v_cndmask_b32_e64 v6, 0, 4, vcc_lo
	v_cmp_gt_u32_e32 vcc_lo, 56, v1
	s_wait_dscnt 0x0
	v_add_f32_e32 v5, v2, v4
	v_add_lshl_u32 v4, v7, v1, 2
	v_add_nc_u32_e32 v7, 2, v1
	s_delay_alu instid0(VALU_DEP_3) | instskip(NEXT) | instid1(VALU_DEP_2)
	v_cndmask_b32_e64 v2, v2, v5, s1
	v_cmp_lt_u32_e64 s2, v7, v8
	v_cndmask_b32_e64 v7, 0, 8, vcc_lo
	v_cmp_gt_u32_e32 vcc_lo, 48, v1
	ds_bpermute_b32 v5, v4, v2
	s_wait_dscnt 0x0
	v_add_f32_e32 v9, v2, v5
	v_add_lshl_u32 v5, v6, v1, 2
	s_delay_alu instid0(VALU_DEP_2) | instskip(SKIP_4) | instid1(VALU_DEP_2)
	v_cndmask_b32_e64 v2, v2, v9, s2
	ds_bpermute_b32 v6, v5, v2
	s_wait_dscnt 0x0
	v_dual_add_f32 v10, v2, v6 :: v_dual_add_nc_u32 v9, 4, v1
	v_add_lshl_u32 v6, v7, v1, 2
	v_cmp_lt_u32_e64 s3, v9, v8
	v_cndmask_b32_e64 v9, 0, 16, vcc_lo
	s_delay_alu instid0(VALU_DEP_2) | instskip(SKIP_3) | instid1(VALU_DEP_1)
	v_cndmask_b32_e64 v2, v2, v10, s3
	ds_bpermute_b32 v7, v6, v2
	s_wait_dscnt 0x0
	v_dual_add_f32 v11, v2, v7 :: v_dual_add_nc_u32 v10, 8, v1
	v_cmp_lt_u32_e64 s4, v10, v8
	v_add_lshl_u32 v7, v9, v1, 2
	s_delay_alu instid0(VALU_DEP_2) | instskip(NEXT) | instid1(VALU_DEP_1)
	v_dual_add_nc_u32 v10, 16, v1 :: v_dual_cndmask_b32 v9, v2, v11, s4
	v_cmp_lt_u32_e64 s5, v10, v8
	ds_bpermute_b32 v2, v7, v9
	s_wait_dscnt 0x0
	v_dual_add_f32 v11, v9, v2 :: v_dual_lshlrev_b32 v2, 2, v1
	s_delay_alu instid0(VALU_DEP_1) | instskip(SKIP_3) | instid1(VALU_DEP_1)
	v_cndmask_b32_e64 v9, v9, v11, s5
	ds_bpermute_b32 v10, v2, v9 offset:128
	s_wait_dscnt 0x0
	v_dual_add_f32 v10, v9, v10 :: v_dual_bitop2_b32 v11, 32, v1 bitop3:0x54
	v_cmp_lt_u32_e64 s8, v11, v8
	s_delay_alu instid0(VALU_DEP_1)
	v_cndmask_b32_e64 v8, v9, v10, s8
	s_and_saveexec_b32 s7, s6
; %bb.45:
	v_lshrrev_b32_e32 v9, 4, v0
	s_delay_alu instid0(VALU_DEP_1)
	v_and_b32_e32 v9, 60, v9
	ds_store_b32 v9, v8
; %bb.46:
	s_or_b32 exec_lo, exec_lo, s7
	v_cmp_gt_u32_e64 s7, 16, v0
	s_wait_storecnt_dscnt 0x0
	s_barrier_signal -1
	s_barrier_wait -1
	s_and_saveexec_b32 s25, s7
	s_cbranch_execz .LBB0_48
; %bb.47:
	ds_load_b32 v8, v2
	v_and_b32_e32 v9, 15, v1
	s_add_co_i32 s9, s24, 63
	s_delay_alu instid0(SALU_CYCLE_1) | instskip(NEXT) | instid1(VALU_DEP_1)
	s_lshr_b32 s30, s9, 6
	v_cmp_ne_u32_e32 vcc_lo, 15, v9
	v_add_co_ci_u32_e64 v10, null, 0, v1, vcc_lo
	s_delay_alu instid0(VALU_DEP_1)
	v_lshlrev_b32_e32 v10, 2, v10
	v_cmp_gt_u32_e32 vcc_lo, 14, v9
	v_cmp_gt_u32_e64 s9, 12, v9
	v_add_nc_u32_e32 v13, 2, v9
	s_wait_dscnt 0x0
	ds_bpermute_b32 v10, v10, v8
	v_add_nc_u32_e32 v12, 1, v9
	v_cndmask_b32_e64 v11, 0, 2, vcc_lo
	s_delay_alu instid0(VALU_DEP_1)
	v_add_lshl_u32 v11, v11, v1, 2
	s_wait_dscnt 0x0
	v_add_f32_e32 v10, v8, v10
	v_cmp_gt_u32_e32 vcc_lo, s30, v12
	v_cndmask_b32_e64 v12, 0, 4, s9
	v_cmp_gt_u32_e64 s9, s30, v13
	s_delay_alu instid0(VALU_DEP_4) | instskip(NEXT) | instid1(VALU_DEP_3)
	v_cndmask_b32_e32 v10, v8, v10, vcc_lo
	v_add_lshl_u32 v12, v12, v1, 2
	ds_bpermute_b32 v11, v11, v10
	s_wait_dscnt 0x0
	v_add_f32_e32 v11, v10, v11
	s_delay_alu instid0(VALU_DEP_1) | instskip(SKIP_2) | instid1(VALU_DEP_1)
	v_cndmask_b32_e64 v10, v10, v11, s9
	ds_bpermute_b32 v11, v12, v10
	v_dual_add_nc_u32 v12, 4, v9 :: v_dual_add_nc_u32 v9, 8, v9
	v_cmp_gt_u32_e64 s9, s30, v12
	s_wait_dscnt 0x0
	v_add_f32_e32 v11, v10, v11
	s_delay_alu instid0(VALU_DEP_1) | instskip(SKIP_4) | instid1(VALU_DEP_1)
	v_dual_cndmask_b32 v10, v10, v11, s9 :: v_dual_bitop2_b32 v11, 32, v2 bitop3:0x54
	v_cmp_gt_u32_e64 s9, s30, v9
	ds_bpermute_b32 v11, v11, v10
	s_wait_dscnt 0x0
	v_add_f32_e32 v11, v10, v11
	v_cndmask_b32_e64 v9, v10, v11, s9
	s_delay_alu instid0(VALU_DEP_1)
	v_cndmask_b32_e32 v8, v8, v9, vcc_lo
.LBB0_48:
	s_or_b32 exec_lo, exec_lo, s25
	v_cmp_eq_u32_e64 s9, 0, v0
	s_and_saveexec_b32 s25, s9
	s_cbranch_execz .LBB0_50
; %bb.49:
	s_cvt_f32_i32 s23, s23
	s_delay_alu instid0(SALU_CYCLE_3) | instskip(SKIP_1) | instid1(VALU_DEP_2)
	v_div_scale_f32 v9, null, s23, s23, v8
	v_div_scale_f32 v12, vcc_lo, v8, s23, v8
	v_rcp_f32_e32 v10, v9
	v_nop
	s_delay_alu instid0(TRANS32_DEP_1) | instskip(NEXT) | instid1(VALU_DEP_1)
	v_fma_f32 v11, -v9, v10, 1.0
	v_fmac_f32_e32 v10, v11, v10
	s_delay_alu instid0(VALU_DEP_1) | instskip(NEXT) | instid1(VALU_DEP_1)
	v_mul_f32_e32 v11, v12, v10
	v_fma_f32 v13, -v9, v11, v12
	s_delay_alu instid0(VALU_DEP_1) | instskip(NEXT) | instid1(VALU_DEP_1)
	v_fmac_f32_e32 v11, v13, v10
	v_fma_f32 v9, -v9, v11, v12
	s_delay_alu instid0(VALU_DEP_1) | instskip(NEXT) | instid1(VALU_DEP_1)
	v_div_fmas_f32 v9, v9, v10, v11
	v_div_fixup_f32 v8, v9, s23, v8
	s_delay_alu instid0(VALU_DEP_1) | instskip(NEXT) | instid1(VALU_DEP_1)
	v_add_f32_e32 v8, s22, v8
	v_mul_f32_e32 v9, 0x4b800000, v8
	v_cmp_gt_f32_e32 vcc_lo, 0x800000, v8
	s_delay_alu instid0(VALU_DEP_2) | instskip(NEXT) | instid1(VALU_DEP_1)
	v_cndmask_b32_e32 v8, v8, v9, vcc_lo
	v_rsq_f32_e32 v8, v8
	v_nop
	s_delay_alu instid0(TRANS32_DEP_1) | instskip(NEXT) | instid1(VALU_DEP_1)
	v_mul_f32_e32 v9, 0x45800000, v8
	v_dual_cndmask_b32 v8, v8, v9 :: v_dual_mov_b32 v9, 0
	ds_store_b32 v9, v8 offset:256
.LBB0_50:
	s_or_b32 exec_lo, exec_lo, s25
	v_mov_b32_e32 v8, 0
	s_wait_dscnt 0x0
	s_barrier_signal -1
	s_barrier_wait -1
	ds_load_b32 v14, v8 offset:256
	s_and_saveexec_b32 s22, s0
	s_cbranch_execz .LBB0_60
; %bb.51:
	v_dual_mov_b32 v8, 0 :: v_dual_mov_b32 v9, v0
	s_lshl_b32 s23, s24, 1
	s_mul_i32 s30, s24, 3
	s_mov_b32 s25, 0
	s_add_co_i32 s31, s24, s24
                                        ; implicit-def: $sgpr34
	s_branch .LBB0_55
.LBB0_52:                               ;   in Loop: Header=BB0_55 Depth=1
	s_or_b32 exec_lo, exec_lo, s37
	s_delay_alu instid0(SALU_CYCLE_1)
	s_or_not1_b32 s37, s38, exec_lo
.LBB0_53:                               ;   in Loop: Header=BB0_55 Depth=1
	s_or_b32 exec_lo, exec_lo, s36
	s_delay_alu instid0(SALU_CYCLE_1) | instskip(SKIP_1) | instid1(SALU_CYCLE_1)
	s_and_not1_b32 s34, s34, exec_lo
	s_and_b32 s36, s37, exec_lo
	s_or_b32 s34, s34, s36
.LBB0_54:                               ;   in Loop: Header=BB0_55 Depth=1
	s_or_b32 exec_lo, exec_lo, s35
	s_delay_alu instid0(SALU_CYCLE_1) | instskip(NEXT) | instid1(SALU_CYCLE_1)
	s_and_b32 s35, exec_lo, s34
	s_or_b32 s25, s35, s25
	s_delay_alu instid0(SALU_CYCLE_1)
	s_and_not1_b32 exec_lo, exec_lo, s25
	s_cbranch_execz .LBB0_59
.LBB0_55:                               ; =>This Inner Loop Header: Depth=1
	s_clause 0x2
	global_load_b128 v[10:13], v9, s[10:11] scale_offset
	global_load_b128 v[16:19], v9, s[16:17] scale_offset
	;; [unrolled: 1-line block ×3, first 2 shown]
	s_or_b32 s34, s34, exec_lo
	s_mov_b32 s35, exec_lo
	s_wait_loadcnt 0x1
	v_dual_add_f32 v10, v10, v16 :: v_dual_add_f32 v11, v11, v17
	v_dual_add_f32 v12, v12, v18 :: v_dual_add_f32 v13, v13, v19
	s_wait_dscnt 0x0
	s_delay_alu instid0(VALU_DEP_2) | instskip(NEXT) | instid1(VALU_DEP_2)
	v_dual_mul_f32 v10, v14, v10 :: v_dual_mul_f32 v11, v14, v11
	v_dual_mul_f32 v12, v14, v12 :: v_dual_mul_f32 v13, v14, v13
	s_wait_loadcnt 0x0
	s_delay_alu instid0(VALU_DEP_2) | instskip(NEXT) | instid1(VALU_DEP_2)
	v_dual_mul_f32 v10, v20, v10 :: v_dual_mul_f32 v11, v21, v11
	v_dual_mul_f32 v12, v22, v12 :: v_dual_mul_f32 v13, v23, v13
	s_delay_alu instid0(VALU_DEP_2) | instskip(SKIP_1) | instid1(VALU_DEP_2)
	v_max3_num_f32 v8, v8, |v10|, |v11|
	v_add_nc_u32_e32 v10, s24, v9
	v_max3_num_f32 v8, v8, |v12|, |v13|
	s_delay_alu instid0(VALU_DEP_2)
	v_cmpx_gt_u32_e64 s33, v10
	s_cbranch_execz .LBB0_54
; %bb.56:                               ;   in Loop: Header=BB0_55 Depth=1
	s_clause 0x2
	global_load_b128 v[16:19], v10, s[10:11] scale_offset
	global_load_b128 v[20:23], v10, s[16:17] scale_offset
	;; [unrolled: 1-line block ×3, first 2 shown]
	s_mov_b32 s37, -1
	s_mov_b32 s36, exec_lo
	s_wait_loadcnt 0x1
	v_dual_add_f32 v11, v16, v20 :: v_dual_add_f32 v12, v17, v21
	v_dual_add_f32 v13, v18, v22 :: v_dual_add_f32 v15, v19, v23
	s_delay_alu instid0(VALU_DEP_2) | instskip(NEXT) | instid1(VALU_DEP_2)
	v_dual_mul_f32 v11, v14, v11 :: v_dual_mul_f32 v12, v14, v12
	v_dual_mul_f32 v13, v14, v13 :: v_dual_mul_f32 v15, v14, v15
	s_wait_loadcnt 0x0
	s_delay_alu instid0(VALU_DEP_2) | instskip(NEXT) | instid1(VALU_DEP_2)
	v_dual_mul_f32 v11, v24, v11 :: v_dual_mul_f32 v12, v25, v12
	v_dual_mul_f32 v13, v26, v13 :: v_dual_mul_f32 v15, v27, v15
	s_delay_alu instid0(VALU_DEP_2) | instskip(SKIP_1) | instid1(VALU_DEP_2)
	v_max3_num_f32 v8, v8, |v11|, |v12|
	v_add_nc_u32_e32 v11, s23, v9
	v_max3_num_f32 v8, v8, |v13|, |v15|
	s_delay_alu instid0(VALU_DEP_2)
	v_cmpx_gt_u32_e64 s33, v11
	s_cbranch_execz .LBB0_53
; %bb.57:                               ;   in Loop: Header=BB0_55 Depth=1
	s_clause 0x2
	global_load_b128 v[16:19], v11, s[10:11] scale_offset
	global_load_b128 v[20:23], v11, s[16:17] scale_offset
	;; [unrolled: 1-line block ×3, first 2 shown]
	s_mov_b32 s38, -1
	s_mov_b32 s37, exec_lo
	s_wait_loadcnt 0x1
	s_wait_xcnt 0x0
	v_dual_add_f32 v11, v16, v20 :: v_dual_add_f32 v12, v17, v21
	v_dual_add_f32 v13, v18, v22 :: v_dual_add_f32 v15, v19, v23
	s_delay_alu instid0(VALU_DEP_2) | instskip(NEXT) | instid1(VALU_DEP_2)
	v_dual_mul_f32 v11, v14, v11 :: v_dual_mul_f32 v12, v14, v12
	v_dual_mul_f32 v13, v14, v13 :: v_dual_mul_f32 v15, v14, v15
	s_wait_loadcnt 0x0
	s_delay_alu instid0(VALU_DEP_2) | instskip(NEXT) | instid1(VALU_DEP_2)
	v_dual_mul_f32 v11, v24, v11 :: v_dual_mul_f32 v12, v25, v12
	v_dual_mul_f32 v13, v26, v13 :: v_dual_mul_f32 v15, v27, v15
	s_delay_alu instid0(VALU_DEP_2) | instskip(SKIP_1) | instid1(VALU_DEP_2)
	v_max3_num_f32 v8, v8, |v11|, |v12|
	v_add_nc_u32_e32 v11, s30, v9
                                        ; implicit-def: $vgpr9
	v_max3_num_f32 v8, v8, |v13|, |v15|
	s_delay_alu instid0(VALU_DEP_2)
	v_cmpx_gt_u32_e64 s33, v11
	s_xor_b32 s37, exec_lo, s37
	s_cbranch_execz .LBB0_52
; %bb.58:                               ;   in Loop: Header=BB0_55 Depth=1
	s_clause 0x2
	global_load_b128 v[16:19], v11, s[10:11] scale_offset
	global_load_b128 v[20:23], v11, s[16:17] scale_offset
	;; [unrolled: 1-line block ×3, first 2 shown]
	s_wait_loadcnt 0x1
	s_wait_xcnt 0x0
	v_dual_add_f32 v9, v16, v20 :: v_dual_add_f32 v11, v17, v21
	v_dual_add_f32 v12, v18, v22 :: v_dual_add_f32 v13, v19, v23
	s_delay_alu instid0(VALU_DEP_2) | instskip(NEXT) | instid1(VALU_DEP_2)
	v_dual_mul_f32 v9, v14, v9 :: v_dual_mul_f32 v11, v14, v11
	v_dual_mul_f32 v12, v14, v12 :: v_dual_mul_f32 v13, v14, v13
	s_wait_loadcnt 0x0
	s_delay_alu instid0(VALU_DEP_2) | instskip(SKIP_1) | instid1(VALU_DEP_3)
	v_dual_mul_f32 v15, v24, v9 :: v_dual_mul_f32 v11, v25, v11
	v_add3_u32 v9, s31, s24, v10
	v_mul_f32_e32 v10, v26, v12
	s_delay_alu instid0(VALU_DEP_3) | instskip(SKIP_1) | instid1(VALU_DEP_4)
	v_max3_num_f32 v8, v8, |v15|, |v11|
	v_mul_f32_e32 v11, v27, v13
	v_cmp_le_u32_e32 vcc_lo, s33, v9
	s_delay_alu instid0(VALU_DEP_2)
	v_max3_num_f32 v8, v8, |v10|, |v11|
	s_or_not1_b32 s38, vcc_lo, exec_lo
	s_branch .LBB0_52
.LBB0_59:
	s_or_b32 exec_lo, exec_lo, s25
.LBB0_60:
	s_delay_alu instid0(SALU_CYCLE_1)
	s_or_b32 exec_lo, exec_lo, s22
	ds_bpermute_b32 v3, v3, v8
	v_or_b32_e32 v9, 0x80, v2
	s_wait_dscnt 0x0
	v_cmp_lt_f32_e32 vcc_lo, v8, v3
	v_cndmask_b32_e32 v3, v8, v3, vcc_lo
	s_delay_alu instid0(VALU_DEP_1) | instskip(SKIP_1) | instid1(SALU_CYCLE_1)
	v_cndmask_b32_e64 v3, v8, v3, s1
	s_or_b32 s1, s1, s2
	s_or_b32 s1, s3, s1
	s_delay_alu instid0(SALU_CYCLE_1)
	s_or_b32 s1, s4, s1
	ds_bpermute_b32 v4, v4, v3
	s_or_b32 s1, s5, s1
	s_wait_dscnt 0x0
	v_cmp_lt_f32_e32 vcc_lo, v3, v4
	v_cndmask_b32_e32 v4, v3, v4, vcc_lo
	s_delay_alu instid0(VALU_DEP_1) | instskip(SKIP_4) | instid1(VALU_DEP_1)
	v_cndmask_b32_e64 v3, v3, v4, s2
	ds_bpermute_b32 v4, v5, v3
	s_wait_dscnt 0x0
	v_cmp_lt_f32_e32 vcc_lo, v3, v4
	v_cndmask_b32_e32 v4, v3, v4, vcc_lo
	v_cndmask_b32_e64 v3, v3, v4, s3
	ds_bpermute_b32 v4, v6, v3
	s_wait_dscnt 0x0
	v_cmp_lt_f32_e32 vcc_lo, v3, v4
	v_cndmask_b32_e32 v4, v3, v4, vcc_lo
	s_delay_alu instid0(VALU_DEP_1) | instskip(SKIP_4) | instid1(VALU_DEP_1)
	v_cndmask_b32_e64 v3, v3, v4, s4
	ds_bpermute_b32 v4, v7, v3
	s_wait_dscnt 0x0
	v_cmp_lt_f32_e32 vcc_lo, v3, v4
	v_cndmask_b32_e32 v4, v3, v4, vcc_lo
	v_cndmask_b32_e64 v3, v3, v4, s5
	ds_bpermute_b32 v4, v9, v3
	s_wait_dscnt 0x0
	v_cmp_lt_f32_e32 vcc_lo, v3, v4
	s_and_b32 vcc_lo, s8, vcc_lo
	v_cndmask_b32_e32 v3, v3, v4, vcc_lo
	s_or_b32 vcc_lo, s8, s1
	s_delay_alu instid0(VALU_DEP_1)
	v_cndmask_b32_e32 v3, v8, v3, vcc_lo
	s_and_saveexec_b32 s1, s6
; %bb.61:
	v_lshrrev_b32_e32 v4, 4, v0
	s_delay_alu instid0(VALU_DEP_1)
	v_and_b32_e32 v4, 60, v4
	ds_store_b32 v4, v3 offset:64
; %bb.62:
	s_or_b32 exec_lo, exec_lo, s1
	s_wait_dscnt 0x0
	s_barrier_signal -1
	s_barrier_wait -1
	s_and_saveexec_b32 s3, s7
	s_cbranch_execz .LBB0_64
; %bb.63:
	ds_load_b32 v3, v2 offset:64
	v_and_b32_e32 v4, 15, v1
	s_add_co_i32 s1, s24, 63
	v_or_b32_e32 v2, 32, v2
	s_lshr_b32 s2, s1, 6
	s_delay_alu instid0(VALU_DEP_2) | instskip(SKIP_4) | instid1(VALU_DEP_3)
	v_cmp_ne_u32_e32 vcc_lo, 15, v4
	v_add_nc_u32_e32 v6, 1, v4
	v_cmp_gt_u32_e64 s1, 12, v4
	v_add_co_ci_u32_e64 v5, null, 0, v1, vcc_lo
	v_cmp_gt_u32_e32 vcc_lo, 14, v4
	v_cndmask_b32_e64 v8, 0, 4, s1
	s_delay_alu instid0(VALU_DEP_3)
	v_lshlrev_b32_e32 v5, 2, v5
	v_cndmask_b32_e64 v7, 0, 2, vcc_lo
	s_wait_dscnt 0x0
	ds_bpermute_b32 v5, v5, v3
	v_add_lshl_u32 v7, v7, v1, 2
	v_add_lshl_u32 v1, v8, v1, 2
	s_wait_dscnt 0x0
	v_cmp_lt_f32_e32 vcc_lo, v3, v5
	v_cndmask_b32_e32 v5, v3, v5, vcc_lo
	v_cmp_gt_u32_e32 vcc_lo, s2, v6
	s_delay_alu instid0(VALU_DEP_2) | instskip(SKIP_3) | instid1(VALU_DEP_1)
	v_cndmask_b32_e32 v5, v3, v5, vcc_lo
	ds_bpermute_b32 v6, v7, v5
	s_wait_dscnt 0x0
	v_cmp_lt_f32_e64 s1, v5, v6
	v_dual_cndmask_b32 v6, v5, v6, s1 :: v_dual_add_nc_u32 v7, 2, v4
	s_delay_alu instid0(VALU_DEP_1) | instskip(NEXT) | instid1(VALU_DEP_1)
	v_cmp_gt_u32_e64 s1, s2, v7
	v_dual_cndmask_b32 v5, v5, v6, s1 :: v_dual_add_nc_u32 v6, 4, v4
	v_add_nc_u32_e32 v4, 8, v4
	ds_bpermute_b32 v1, v1, v5
	s_wait_dscnt 0x0
	v_cmp_lt_f32_e64 s1, v5, v1
	s_delay_alu instid0(VALU_DEP_1) | instskip(SKIP_1) | instid1(VALU_DEP_1)
	v_cndmask_b32_e64 v1, v5, v1, s1
	v_cmp_gt_u32_e64 s1, s2, v6
	v_cndmask_b32_e64 v1, v5, v1, s1
	v_cmp_gt_u32_e64 s1, s2, v4
	ds_bpermute_b32 v2, v2, v1
	s_wait_dscnt 0x0
	v_cmp_lt_f32_e64 s2, v1, v2
	s_and_b32 s1, s1, s2
	s_delay_alu instid0(SALU_CYCLE_1) | instskip(NEXT) | instid1(VALU_DEP_1)
	v_cndmask_b32_e64 v1, v1, v2, s1
	v_cndmask_b32_e32 v3, v3, v1, vcc_lo
.LBB0_64:
	s_or_b32 exec_lo, exec_lo, s3
	s_and_saveexec_b32 s1, s9
	s_cbranch_execz .LBB0_68
; %bb.65:
	s_cmp_eq_u64 s[20:21], 0
	s_cbranch_scc1 .LBB0_67
; %bb.66:
	v_dual_mov_b32 v1, 0 :: v_dual_max_num_f32 v2, v3, v3
	global_load_b32 v1, v1, s[20:21]
	s_wait_loadcnt 0x0
	v_max_num_f32_e32 v1, v1, v1
	s_delay_alu instid0(VALU_DEP_1)
	v_min_num_f32_e32 v3, v2, v1
.LBB0_67:
	s_delay_alu instid0(VALU_DEP_1)
	v_div_scale_f32 v1, null, 0x43e00000, 0x43e00000, v3
	v_div_scale_f32 v5, vcc_lo, v3, 0x43e00000, v3
	s_lshl_b64 s[2:3], s[28:29], 2
	v_rcp_f32_e32 v2, v1
	s_add_nc_u64 s[2:3], s[14:15], s[2:3]
	v_nop
	s_delay_alu instid0(TRANS32_DEP_1) | instskip(NEXT) | instid1(VALU_DEP_1)
	v_fma_f32 v4, -v1, v2, 1.0
	v_fmac_f32_e32 v2, v4, v2
	s_delay_alu instid0(VALU_DEP_1) | instskip(NEXT) | instid1(VALU_DEP_1)
	v_mul_f32_e32 v4, v5, v2
	v_fma_f32 v6, -v1, v4, v5
	s_delay_alu instid0(VALU_DEP_1) | instskip(NEXT) | instid1(VALU_DEP_1)
	v_fmac_f32_e32 v4, v6, v2
	v_fma_f32 v1, -v1, v4, v5
	s_delay_alu instid0(VALU_DEP_1) | instskip(SKIP_1) | instid1(VALU_DEP_2)
	v_div_fmas_f32 v1, v1, v2, v4
	v_mov_b32_e32 v2, 0
	v_div_fixup_f32 v1, v1, 0x43e00000, v3
	s_delay_alu instid0(VALU_DEP_1)
	v_max_num_f32_e32 v1, 0x36924925, v1
	ds_store_b32 v2, v1 offset:260
	global_store_b32 v2, v1, s[2:3]
.LBB0_68:
	s_wait_xcnt 0x0
	s_or_b32 exec_lo, exec_lo, s1
	s_wait_storecnt_dscnt 0x0
	s_barrier_signal -1
	s_barrier_wait -1
	s_and_saveexec_b32 s1, s0
	s_cbranch_execz .LBB0_173
; %bb.69:
	v_mov_b32_e32 v1, 0
	s_add_nc_u64 s[0:1], s[12:13], s[26:27]
	s_lshl_b32 s2, s24, 1
	s_mul_i32 s3, s24, 3
	s_mov_b32 s4, 0
	ds_load_b32 v15, v1 offset:260
	s_mov_b32 s5, 0x43e00000
	s_add_co_i32 s6, s24, s24
	s_branch .LBB0_75
.LBB0_70:                               ;   in Loop: Header=BB0_75 Depth=1
	s_or_b32 exec_lo, exec_lo, s13
.LBB0_71:                               ;   in Loop: Header=BB0_75 Depth=1
	s_delay_alu instid0(SALU_CYCLE_1) | instskip(SKIP_4) | instid1(VALU_DEP_4)
	s_or_b32 exec_lo, exec_lo, s12
	v_dual_lshrrev_b32 v6, 24, v6 :: v_dual_lshrrev_b32 v3, 24, v3
	v_and_b32_e32 v5, 0x80000000, v5
	v_and_b32_e32 v9, 0xff, v11
	v_lshlrev_b32_e32 v4, 24, v4
	v_and_b32_e32 v6, 0x80, v6
	v_and_b32_e32 v3, 0x80, v3
	s_delay_alu instid0(VALU_DEP_2) | instskip(SKIP_1) | instid1(VALU_DEP_3)
	v_and_or_b32 v6, 0xff, v7, v6
	v_lshrrev_b32_e32 v7, 24, v2
	v_and_or_b32 v8, 0xff, v12, v3
	v_lshl_add_u64 v[2:3], v[0:1], 2, s[0:1]
	v_add3_u32 v0, s6, s24, v10
	s_delay_alu instid0(VALU_DEP_3) | instskip(NEXT) | instid1(VALU_DEP_2)
	v_dual_lshlrev_b32 v6, 16, v6 :: v_dual_lshlrev_b32 v8, 8, v8
	v_cmp_le_u32_e32 vcc_lo, s33, v0
	s_delay_alu instid0(VALU_DEP_2) | instskip(SKIP_2) | instid1(VALU_DEP_1)
	v_or3_b32 v4, v5, v4, v6
	v_and_or_b32 v5, 0x80, v7, v9
	s_or_not1_b32 s12, vcc_lo, exec_lo
	v_or3_b32 v4, v4, v8, v5
	global_store_b32 v[2:3], v4, off
.LBB0_72:                               ;   in Loop: Header=BB0_75 Depth=1
	s_wait_xcnt 0x0
	s_or_b32 exec_lo, exec_lo, s9
	s_delay_alu instid0(SALU_CYCLE_1)
	s_or_not1_b32 s9, s12, exec_lo
.LBB0_73:                               ;   in Loop: Header=BB0_75 Depth=1
	s_or_b32 exec_lo, exec_lo, s8
	s_delay_alu instid0(SALU_CYCLE_1)
	s_or_not1_b32 s8, s9, exec_lo
.LBB0_74:                               ;   in Loop: Header=BB0_75 Depth=1
	s_or_b32 exec_lo, exec_lo, s7
	s_delay_alu instid0(SALU_CYCLE_1) | instskip(NEXT) | instid1(SALU_CYCLE_1)
	s_and_b32 s7, exec_lo, s8
	s_or_b32 s4, s7, s4
	s_delay_alu instid0(SALU_CYCLE_1)
	s_and_not1_b32 exec_lo, exec_lo, s4
	s_cbranch_execz .LBB0_173
.LBB0_75:                               ; =>This Inner Loop Header: Depth=1
	s_clause 0x2
	global_load_b128 v[6:9], v0, s[10:11] scale_offset
	global_load_b128 v[16:19], v0, s[16:17] scale_offset
	;; [unrolled: 1-line block ×3, first 2 shown]
	s_mov_b32 s7, exec_lo
	s_wait_loadcnt 0x1
	v_pk_add_f32 v[6:7], v[6:7], v[16:17]
	v_pk_add_f32 v[8:9], v[8:9], v[18:19]
	s_delay_alu instid0(VALU_DEP_2) | instskip(SKIP_4) | instid1(VALU_DEP_1)
	v_mul_f32_e32 v10, v14, v6
	global_store_b128 v0, v[6:9], s[16:17] scale_offset
	s_wait_loadcnt 0x0
	v_mul_f32_e32 v2, v2, v10
	s_wait_dscnt 0x0
	v_div_scale_f32 v10, null, v15, v15, v2
	v_div_scale_f32 v13, vcc_lo, v2, v15, v2
	s_delay_alu instid0(VALU_DEP_2) | instskip(SKIP_1) | instid1(TRANS32_DEP_1)
	v_rcp_f32_e32 v11, v10
	v_nop
	v_fma_f32 v12, -v10, v11, 1.0
	s_delay_alu instid0(VALU_DEP_1) | instskip(NEXT) | instid1(VALU_DEP_1)
	v_fmac_f32_e32 v11, v12, v11
	v_mul_f32_e32 v12, v13, v11
	s_delay_alu instid0(VALU_DEP_1) | instskip(NEXT) | instid1(VALU_DEP_1)
	v_fma_f32 v16, -v10, v12, v13
	v_fmac_f32_e32 v12, v16, v11
	s_delay_alu instid0(VALU_DEP_1) | instskip(NEXT) | instid1(VALU_DEP_1)
	v_fma_f32 v10, -v10, v12, v13
	v_div_fmas_f32 v10, v10, v11, v12
	v_mov_b32_e32 v11, 0x7f
	s_delay_alu instid0(VALU_DEP_2) | instskip(SKIP_1) | instid1(VALU_DEP_2)
	v_div_fixup_f32 v2, v10, v15, v2
	v_mov_b32_e32 v10, 0x7f
	v_minmax_num_f32 v2, v2, s5, 0xc3e00000
	s_delay_alu instid0(VALU_DEP_1) | instskip(SKIP_1) | instid1(VALU_DEP_1)
	v_and_b32_e32 v12, 0x7fffffff, v2
	s_wait_xcnt 0x0
	v_cmpx_gt_u32_e32 0x43f00000, v12
	s_cbranch_execz .LBB0_81
; %bb.76:                               ;   in Loop: Header=BB0_75 Depth=1
	s_mov_b32 s8, exec_lo
                                        ; implicit-def: $vgpr10
	v_cmpx_lt_u32_e32 0x3c7fffff, v12
	s_xor_b32 s8, exec_lo, s8
; %bb.77:                               ;   in Loop: Header=BB0_75 Depth=1
	v_bfe_u32 v6, v2, 20, 1
	s_delay_alu instid0(VALU_DEP_1) | instskip(NEXT) | instid1(VALU_DEP_1)
	v_add3_u32 v6, v2, v6, 0x407ffff
	v_lshrrev_b32_e32 v10, 20, v6
; %bb.78:                               ;   in Loop: Header=BB0_75 Depth=1
	s_and_not1_saveexec_b32 s8, s8
; %bb.79:                               ;   in Loop: Header=BB0_75 Depth=1
	v_add_f32_e64 v10, 0x46800000, |v2|
; %bb.80:                               ;   in Loop: Header=BB0_75 Depth=1
	s_or_b32 exec_lo, exec_lo, s8
.LBB0_81:                               ;   in Loop: Header=BB0_75 Depth=1
	s_delay_alu instid0(SALU_CYCLE_1) | instskip(SKIP_2) | instid1(VALU_DEP_1)
	s_or_b32 exec_lo, exec_lo, s7
	v_mul_f32_e32 v6, v14, v7
	s_mov_b32 s7, exec_lo
	v_mul_f32_e32 v3, v3, v6
	s_delay_alu instid0(VALU_DEP_1) | instskip(NEXT) | instid1(VALU_DEP_1)
	v_div_scale_f32 v6, null, v15, v15, v3
	v_rcp_f32_e32 v7, v6
	v_nop
	s_delay_alu instid0(TRANS32_DEP_1) | instskip(NEXT) | instid1(VALU_DEP_1)
	v_fma_f32 v12, -v6, v7, 1.0
	v_fmac_f32_e32 v7, v12, v7
	v_div_scale_f32 v12, vcc_lo, v3, v15, v3
	s_delay_alu instid0(VALU_DEP_1) | instskip(NEXT) | instid1(VALU_DEP_1)
	v_mul_f32_e32 v13, v12, v7
	v_fma_f32 v16, -v6, v13, v12
	s_delay_alu instid0(VALU_DEP_1) | instskip(NEXT) | instid1(VALU_DEP_1)
	v_fmac_f32_e32 v13, v16, v7
	v_fma_f32 v6, -v6, v13, v12
	s_delay_alu instid0(VALU_DEP_1) | instskip(NEXT) | instid1(VALU_DEP_1)
	v_div_fmas_f32 v6, v6, v7, v13
	v_div_fixup_f32 v3, v6, v15, v3
	s_delay_alu instid0(VALU_DEP_1) | instskip(NEXT) | instid1(VALU_DEP_1)
	v_minmax_num_f32 v3, v3, s5, 0xc3e00000
	v_and_b32_e32 v6, 0x7fffffff, v3
	s_delay_alu instid0(VALU_DEP_1)
	v_cmpx_gt_u32_e32 0x43f00000, v6
	s_cbranch_execz .LBB0_87
; %bb.82:                               ;   in Loop: Header=BB0_75 Depth=1
	s_mov_b32 s8, exec_lo
                                        ; implicit-def: $vgpr11
	v_cmpx_lt_u32_e32 0x3c7fffff, v6
	s_xor_b32 s8, exec_lo, s8
; %bb.83:                               ;   in Loop: Header=BB0_75 Depth=1
	v_bfe_u32 v6, v3, 20, 1
	s_delay_alu instid0(VALU_DEP_1) | instskip(NEXT) | instid1(VALU_DEP_1)
	v_add3_u32 v6, v3, v6, 0x407ffff
	v_lshrrev_b32_e32 v11, 20, v6
; %bb.84:                               ;   in Loop: Header=BB0_75 Depth=1
	s_and_not1_saveexec_b32 s8, s8
; %bb.85:                               ;   in Loop: Header=BB0_75 Depth=1
	v_add_f32_e64 v11, 0x46800000, |v3|
; %bb.86:                               ;   in Loop: Header=BB0_75 Depth=1
	s_or_b32 exec_lo, exec_lo, s8
.LBB0_87:                               ;   in Loop: Header=BB0_75 Depth=1
	s_delay_alu instid0(SALU_CYCLE_1) | instskip(SKIP_2) | instid1(VALU_DEP_1)
	s_or_b32 exec_lo, exec_lo, s7
	v_mul_f32_e32 v6, v14, v8
	s_mov_b32 s7, exec_lo
	v_mul_f32_e32 v4, v4, v6
	s_delay_alu instid0(VALU_DEP_1) | instskip(SKIP_1) | instid1(VALU_DEP_2)
	v_div_scale_f32 v6, null, v15, v15, v4
	v_div_scale_f32 v12, vcc_lo, v4, v15, v4
	v_rcp_f32_e32 v7, v6
	v_nop
	s_delay_alu instid0(TRANS32_DEP_1) | instskip(NEXT) | instid1(VALU_DEP_1)
	v_fma_f32 v8, -v6, v7, 1.0
	v_fmac_f32_e32 v7, v8, v7
	s_delay_alu instid0(VALU_DEP_1) | instskip(NEXT) | instid1(VALU_DEP_1)
	v_mul_f32_e32 v8, v12, v7
	v_fma_f32 v13, -v6, v8, v12
	s_delay_alu instid0(VALU_DEP_1) | instskip(NEXT) | instid1(VALU_DEP_1)
	v_fmac_f32_e32 v8, v13, v7
	v_fma_f32 v6, -v6, v8, v12
	s_delay_alu instid0(VALU_DEP_1) | instskip(SKIP_1) | instid1(VALU_DEP_2)
	v_div_fmas_f32 v6, v6, v7, v8
	v_mov_b32_e32 v7, 0x7f
	v_div_fixup_f32 v4, v6, v15, v4
	s_delay_alu instid0(VALU_DEP_1) | instskip(SKIP_1) | instid1(VALU_DEP_2)
	v_minmax_num_f32 v6, v4, s5, 0xc3e00000
	v_mov_b32_e32 v4, 0x7f
	v_and_b32_e32 v8, 0x7fffffff, v6
	s_delay_alu instid0(VALU_DEP_1)
	v_cmpx_gt_u32_e32 0x43f00000, v8
	s_cbranch_execz .LBB0_93
; %bb.88:                               ;   in Loop: Header=BB0_75 Depth=1
	s_mov_b32 s8, exec_lo
                                        ; implicit-def: $vgpr7
	v_cmpx_lt_u32_e32 0x3c7fffff, v8
	s_xor_b32 s8, exec_lo, s8
; %bb.89:                               ;   in Loop: Header=BB0_75 Depth=1
	v_bfe_u32 v7, v6, 20, 1
	s_delay_alu instid0(VALU_DEP_1) | instskip(NEXT) | instid1(VALU_DEP_1)
	v_add3_u32 v7, v6, v7, 0x407ffff
	v_lshrrev_b32_e32 v7, 20, v7
; %bb.90:                               ;   in Loop: Header=BB0_75 Depth=1
	s_and_not1_saveexec_b32 s8, s8
; %bb.91:                               ;   in Loop: Header=BB0_75 Depth=1
	v_add_f32_e64 v7, 0x46800000, |v6|
; %bb.92:                               ;   in Loop: Header=BB0_75 Depth=1
	s_or_b32 exec_lo, exec_lo, s8
.LBB0_93:                               ;   in Loop: Header=BB0_75 Depth=1
	s_delay_alu instid0(SALU_CYCLE_1) | instskip(SKIP_2) | instid1(VALU_DEP_1)
	s_or_b32 exec_lo, exec_lo, s7
	v_mul_f32_e32 v8, v14, v9
	s_mov_b32 s7, exec_lo
	v_mul_f32_e32 v5, v5, v8
	s_delay_alu instid0(VALU_DEP_1) | instskip(NEXT) | instid1(VALU_DEP_1)
	v_div_scale_f32 v8, null, v15, v15, v5
	v_rcp_f32_e32 v9, v8
	v_nop
	s_delay_alu instid0(TRANS32_DEP_1) | instskip(NEXT) | instid1(VALU_DEP_1)
	v_fma_f32 v12, -v8, v9, 1.0
	v_fmac_f32_e32 v9, v12, v9
	v_div_scale_f32 v12, vcc_lo, v5, v15, v5
	s_delay_alu instid0(VALU_DEP_1) | instskip(NEXT) | instid1(VALU_DEP_1)
	v_mul_f32_e32 v13, v12, v9
	v_fma_f32 v16, -v8, v13, v12
	s_delay_alu instid0(VALU_DEP_1) | instskip(NEXT) | instid1(VALU_DEP_1)
	v_fmac_f32_e32 v13, v16, v9
	v_fma_f32 v8, -v8, v13, v12
	s_delay_alu instid0(VALU_DEP_1) | instskip(NEXT) | instid1(VALU_DEP_1)
	v_div_fmas_f32 v8, v8, v9, v13
	v_div_fixup_f32 v5, v8, v15, v5
	s_delay_alu instid0(VALU_DEP_1) | instskip(NEXT) | instid1(VALU_DEP_1)
	v_minmax_num_f32 v5, v5, s5, 0xc3e00000
	v_and_b32_e32 v8, 0x7fffffff, v5
	s_delay_alu instid0(VALU_DEP_1)
	v_cmpx_gt_u32_e32 0x43f00000, v8
	s_cbranch_execz .LBB0_99
; %bb.94:                               ;   in Loop: Header=BB0_75 Depth=1
	s_mov_b32 s8, exec_lo
                                        ; implicit-def: $vgpr4
	v_cmpx_lt_u32_e32 0x3c7fffff, v8
	s_xor_b32 s8, exec_lo, s8
; %bb.95:                               ;   in Loop: Header=BB0_75 Depth=1
	v_bfe_u32 v4, v5, 20, 1
	s_delay_alu instid0(VALU_DEP_1) | instskip(NEXT) | instid1(VALU_DEP_1)
	v_add3_u32 v4, v5, v4, 0x407ffff
	v_lshrrev_b32_e32 v4, 20, v4
; %bb.96:                               ;   in Loop: Header=BB0_75 Depth=1
	s_and_not1_saveexec_b32 s8, s8
; %bb.97:                               ;   in Loop: Header=BB0_75 Depth=1
	v_add_f32_e64 v4, 0x46800000, |v5|
; %bb.98:                               ;   in Loop: Header=BB0_75 Depth=1
	s_or_b32 exec_lo, exec_lo, s8
.LBB0_99:                               ;   in Loop: Header=BB0_75 Depth=1
	s_delay_alu instid0(SALU_CYCLE_1) | instskip(SKIP_1) | instid1(VALU_DEP_2)
	s_or_b32 exec_lo, exec_lo, s7
	v_dual_lshrrev_b32 v6, 24, v6 :: v_dual_lshrrev_b32 v3, 24, v3
	v_dual_lshrrev_b32 v2, 24, v2 :: v_dual_lshlrev_b32 v4, 24, v4
	v_and_b32_e32 v5, 0x80000000, v5
	s_delay_alu instid0(VALU_DEP_3) | instskip(NEXT) | instid1(VALU_DEP_4)
	v_and_b32_e32 v6, 0x80, v6
	v_and_b32_e32 v3, 0x80, v3
	s_mov_b32 s8, -1
	s_mov_b32 s7, exec_lo
	s_delay_alu instid0(VALU_DEP_2) | instskip(NEXT) | instid1(VALU_DEP_2)
	v_and_or_b32 v6, 0xff, v7, v6
	v_and_or_b32 v3, 0xff, v11, v3
	v_and_b32_e32 v7, 0xff, v10
	s_delay_alu instid0(VALU_DEP_3) | instskip(NEXT) | instid1(VALU_DEP_3)
	v_dual_add_nc_u32 v10, s24, v0 :: v_dual_lshlrev_b32 v6, 16, v6
	v_lshlrev_b32_e32 v8, 8, v3
	s_delay_alu instid0(VALU_DEP_2) | instskip(NEXT) | instid1(VALU_DEP_4)
	v_or3_b32 v4, v5, v4, v6
	v_and_or_b32 v5, 0x80, v2, v7
	v_lshl_add_u64 v[2:3], v[0:1], 2, s[0:1]
	s_delay_alu instid0(VALU_DEP_2)
	v_or3_b32 v4, v4, v8, v5
	global_store_b32 v[2:3], v4, off
	s_wait_xcnt 0x0
	v_cmpx_gt_u32_e64 s33, v10
	s_cbranch_execz .LBB0_74
; %bb.100:                              ;   in Loop: Header=BB0_75 Depth=1
	s_clause 0x2
	global_load_b128 v[6:9], v10, s[10:11] scale_offset
	global_load_b128 v[16:19], v10, s[16:17] scale_offset
	;; [unrolled: 1-line block ×3, first 2 shown]
	s_mov_b32 s8, exec_lo
	s_wait_loadcnt 0x1
	v_pk_add_f32 v[6:7], v[6:7], v[16:17]
	v_pk_add_f32 v[8:9], v[8:9], v[18:19]
	s_delay_alu instid0(VALU_DEP_2) | instskip(SKIP_3) | instid1(VALU_DEP_1)
	v_mul_f32_e32 v11, v14, v6
	global_store_b128 v10, v[6:9], s[16:17] scale_offset
	s_wait_loadcnt 0x0
	v_mul_f32_e32 v2, v2, v11
	v_div_scale_f32 v11, null, v15, v15, v2
	v_div_scale_f32 v16, vcc_lo, v2, v15, v2
	s_delay_alu instid0(VALU_DEP_2) | instskip(SKIP_1) | instid1(TRANS32_DEP_1)
	v_rcp_f32_e32 v12, v11
	v_nop
	v_fma_f32 v13, -v11, v12, 1.0
	s_delay_alu instid0(VALU_DEP_1) | instskip(NEXT) | instid1(VALU_DEP_1)
	v_fmac_f32_e32 v12, v13, v12
	v_mul_f32_e32 v13, v16, v12
	s_delay_alu instid0(VALU_DEP_1) | instskip(NEXT) | instid1(VALU_DEP_1)
	v_fma_f32 v17, -v11, v13, v16
	v_fmac_f32_e32 v13, v17, v12
	s_delay_alu instid0(VALU_DEP_1) | instskip(NEXT) | instid1(VALU_DEP_1)
	v_fma_f32 v11, -v11, v13, v16
	v_div_fmas_f32 v11, v11, v12, v13
	v_mov_b32_e32 v12, 0x7f
	s_delay_alu instid0(VALU_DEP_2) | instskip(SKIP_1) | instid1(VALU_DEP_2)
	v_div_fixup_f32 v2, v11, v15, v2
	v_mov_b32_e32 v11, 0x7f
	v_minmax_num_f32 v2, v2, s5, 0xc3e00000
	s_delay_alu instid0(VALU_DEP_1) | instskip(SKIP_1) | instid1(VALU_DEP_1)
	v_and_b32_e32 v13, 0x7fffffff, v2
	s_wait_xcnt 0x0
	v_cmpx_gt_u32_e32 0x43f00000, v13
	s_cbranch_execz .LBB0_106
; %bb.101:                              ;   in Loop: Header=BB0_75 Depth=1
	s_mov_b32 s9, exec_lo
                                        ; implicit-def: $vgpr11
	v_cmpx_lt_u32_e32 0x3c7fffff, v13
	s_xor_b32 s9, exec_lo, s9
; %bb.102:                              ;   in Loop: Header=BB0_75 Depth=1
	v_bfe_u32 v6, v2, 20, 1
	s_delay_alu instid0(VALU_DEP_1) | instskip(NEXT) | instid1(VALU_DEP_1)
	v_add3_u32 v6, v2, v6, 0x407ffff
	v_lshrrev_b32_e32 v11, 20, v6
; %bb.103:                              ;   in Loop: Header=BB0_75 Depth=1
	s_and_not1_saveexec_b32 s9, s9
; %bb.104:                              ;   in Loop: Header=BB0_75 Depth=1
	v_add_f32_e64 v11, 0x46800000, |v2|
; %bb.105:                              ;   in Loop: Header=BB0_75 Depth=1
	s_or_b32 exec_lo, exec_lo, s9
.LBB0_106:                              ;   in Loop: Header=BB0_75 Depth=1
	s_delay_alu instid0(SALU_CYCLE_1) | instskip(SKIP_2) | instid1(VALU_DEP_1)
	s_or_b32 exec_lo, exec_lo, s8
	v_mul_f32_e32 v6, v14, v7
	s_mov_b32 s8, exec_lo
	v_mul_f32_e32 v3, v3, v6
	s_delay_alu instid0(VALU_DEP_1) | instskip(NEXT) | instid1(VALU_DEP_1)
	v_div_scale_f32 v6, null, v15, v15, v3
	v_rcp_f32_e32 v7, v6
	v_nop
	s_delay_alu instid0(TRANS32_DEP_1) | instskip(NEXT) | instid1(VALU_DEP_1)
	v_fma_f32 v13, -v6, v7, 1.0
	v_fmac_f32_e32 v7, v13, v7
	v_div_scale_f32 v13, vcc_lo, v3, v15, v3
	s_delay_alu instid0(VALU_DEP_1) | instskip(NEXT) | instid1(VALU_DEP_1)
	v_mul_f32_e32 v16, v13, v7
	v_fma_f32 v17, -v6, v16, v13
	s_delay_alu instid0(VALU_DEP_1) | instskip(NEXT) | instid1(VALU_DEP_1)
	v_fmac_f32_e32 v16, v17, v7
	v_fma_f32 v6, -v6, v16, v13
	s_delay_alu instid0(VALU_DEP_1) | instskip(NEXT) | instid1(VALU_DEP_1)
	v_div_fmas_f32 v6, v6, v7, v16
	v_div_fixup_f32 v3, v6, v15, v3
	s_delay_alu instid0(VALU_DEP_1) | instskip(NEXT) | instid1(VALU_DEP_1)
	v_minmax_num_f32 v3, v3, s5, 0xc3e00000
	v_and_b32_e32 v6, 0x7fffffff, v3
	s_delay_alu instid0(VALU_DEP_1)
	v_cmpx_gt_u32_e32 0x43f00000, v6
	s_cbranch_execz .LBB0_112
; %bb.107:                              ;   in Loop: Header=BB0_75 Depth=1
	s_mov_b32 s9, exec_lo
                                        ; implicit-def: $vgpr12
	v_cmpx_lt_u32_e32 0x3c7fffff, v6
	s_xor_b32 s9, exec_lo, s9
; %bb.108:                              ;   in Loop: Header=BB0_75 Depth=1
	v_bfe_u32 v6, v3, 20, 1
	s_delay_alu instid0(VALU_DEP_1) | instskip(NEXT) | instid1(VALU_DEP_1)
	v_add3_u32 v6, v3, v6, 0x407ffff
	v_lshrrev_b32_e32 v12, 20, v6
; %bb.109:                              ;   in Loop: Header=BB0_75 Depth=1
	s_and_not1_saveexec_b32 s9, s9
; %bb.110:                              ;   in Loop: Header=BB0_75 Depth=1
	v_add_f32_e64 v12, 0x46800000, |v3|
; %bb.111:                              ;   in Loop: Header=BB0_75 Depth=1
	s_or_b32 exec_lo, exec_lo, s9
.LBB0_112:                              ;   in Loop: Header=BB0_75 Depth=1
	s_delay_alu instid0(SALU_CYCLE_1) | instskip(SKIP_2) | instid1(VALU_DEP_1)
	s_or_b32 exec_lo, exec_lo, s8
	v_mul_f32_e32 v6, v14, v8
	s_mov_b32 s8, exec_lo
	v_mul_f32_e32 v4, v4, v6
	s_delay_alu instid0(VALU_DEP_1) | instskip(SKIP_1) | instid1(VALU_DEP_2)
	v_div_scale_f32 v6, null, v15, v15, v4
	v_div_scale_f32 v13, vcc_lo, v4, v15, v4
	v_rcp_f32_e32 v7, v6
	v_nop
	s_delay_alu instid0(TRANS32_DEP_1) | instskip(NEXT) | instid1(VALU_DEP_1)
	v_fma_f32 v8, -v6, v7, 1.0
	v_fmac_f32_e32 v7, v8, v7
	s_delay_alu instid0(VALU_DEP_1) | instskip(NEXT) | instid1(VALU_DEP_1)
	v_mul_f32_e32 v8, v13, v7
	v_fma_f32 v16, -v6, v8, v13
	s_delay_alu instid0(VALU_DEP_1) | instskip(NEXT) | instid1(VALU_DEP_1)
	v_fmac_f32_e32 v8, v16, v7
	v_fma_f32 v6, -v6, v8, v13
	s_delay_alu instid0(VALU_DEP_1) | instskip(SKIP_1) | instid1(VALU_DEP_2)
	v_div_fmas_f32 v6, v6, v7, v8
	v_mov_b32_e32 v7, 0x7f
	v_div_fixup_f32 v4, v6, v15, v4
	s_delay_alu instid0(VALU_DEP_1) | instskip(SKIP_1) | instid1(VALU_DEP_2)
	v_minmax_num_f32 v6, v4, s5, 0xc3e00000
	v_mov_b32_e32 v4, 0x7f
	v_and_b32_e32 v8, 0x7fffffff, v6
	s_delay_alu instid0(VALU_DEP_1)
	v_cmpx_gt_u32_e32 0x43f00000, v8
	s_cbranch_execz .LBB0_118
; %bb.113:                              ;   in Loop: Header=BB0_75 Depth=1
	s_mov_b32 s9, exec_lo
                                        ; implicit-def: $vgpr7
	v_cmpx_lt_u32_e32 0x3c7fffff, v8
	s_xor_b32 s9, exec_lo, s9
; %bb.114:                              ;   in Loop: Header=BB0_75 Depth=1
	v_bfe_u32 v7, v6, 20, 1
	s_delay_alu instid0(VALU_DEP_1) | instskip(NEXT) | instid1(VALU_DEP_1)
	v_add3_u32 v7, v6, v7, 0x407ffff
	v_lshrrev_b32_e32 v7, 20, v7
; %bb.115:                              ;   in Loop: Header=BB0_75 Depth=1
	s_and_not1_saveexec_b32 s9, s9
; %bb.116:                              ;   in Loop: Header=BB0_75 Depth=1
	v_add_f32_e64 v7, 0x46800000, |v6|
; %bb.117:                              ;   in Loop: Header=BB0_75 Depth=1
	s_or_b32 exec_lo, exec_lo, s9
.LBB0_118:                              ;   in Loop: Header=BB0_75 Depth=1
	s_delay_alu instid0(SALU_CYCLE_1) | instskip(SKIP_2) | instid1(VALU_DEP_1)
	s_or_b32 exec_lo, exec_lo, s8
	v_mul_f32_e32 v8, v14, v9
	s_mov_b32 s8, exec_lo
	v_mul_f32_e32 v5, v5, v8
	s_delay_alu instid0(VALU_DEP_1) | instskip(NEXT) | instid1(VALU_DEP_1)
	v_div_scale_f32 v8, null, v15, v15, v5
	v_rcp_f32_e32 v9, v8
	v_nop
	s_delay_alu instid0(TRANS32_DEP_1) | instskip(NEXT) | instid1(VALU_DEP_1)
	v_fma_f32 v13, -v8, v9, 1.0
	v_fmac_f32_e32 v9, v13, v9
	v_div_scale_f32 v13, vcc_lo, v5, v15, v5
	s_delay_alu instid0(VALU_DEP_1) | instskip(NEXT) | instid1(VALU_DEP_1)
	v_mul_f32_e32 v16, v13, v9
	v_fma_f32 v17, -v8, v16, v13
	s_delay_alu instid0(VALU_DEP_1) | instskip(NEXT) | instid1(VALU_DEP_1)
	v_fmac_f32_e32 v16, v17, v9
	v_fma_f32 v8, -v8, v16, v13
	s_delay_alu instid0(VALU_DEP_1) | instskip(NEXT) | instid1(VALU_DEP_1)
	v_div_fmas_f32 v8, v8, v9, v16
	v_div_fixup_f32 v5, v8, v15, v5
	s_delay_alu instid0(VALU_DEP_1) | instskip(NEXT) | instid1(VALU_DEP_1)
	v_minmax_num_f32 v5, v5, s5, 0xc3e00000
	v_and_b32_e32 v8, 0x7fffffff, v5
	s_delay_alu instid0(VALU_DEP_1)
	v_cmpx_gt_u32_e32 0x43f00000, v8
	s_cbranch_execz .LBB0_124
; %bb.119:                              ;   in Loop: Header=BB0_75 Depth=1
	s_mov_b32 s9, exec_lo
                                        ; implicit-def: $vgpr4
	v_cmpx_lt_u32_e32 0x3c7fffff, v8
	s_xor_b32 s9, exec_lo, s9
; %bb.120:                              ;   in Loop: Header=BB0_75 Depth=1
	v_bfe_u32 v4, v5, 20, 1
	s_delay_alu instid0(VALU_DEP_1) | instskip(NEXT) | instid1(VALU_DEP_1)
	v_add3_u32 v4, v5, v4, 0x407ffff
	v_lshrrev_b32_e32 v4, 20, v4
; %bb.121:                              ;   in Loop: Header=BB0_75 Depth=1
	s_and_not1_saveexec_b32 s9, s9
; %bb.122:                              ;   in Loop: Header=BB0_75 Depth=1
	v_add_f32_e64 v4, 0x46800000, |v5|
; %bb.123:                              ;   in Loop: Header=BB0_75 Depth=1
	s_or_b32 exec_lo, exec_lo, s9
.LBB0_124:                              ;   in Loop: Header=BB0_75 Depth=1
	s_delay_alu instid0(SALU_CYCLE_1) | instskip(SKIP_1) | instid1(VALU_DEP_2)
	s_or_b32 exec_lo, exec_lo, s8
	v_dual_lshrrev_b32 v6, 24, v6 :: v_dual_lshrrev_b32 v3, 24, v3
	v_dual_lshrrev_b32 v2, 24, v2 :: v_dual_lshlrev_b32 v4, 24, v4
	v_and_b32_e32 v5, 0x80000000, v5
	s_delay_alu instid0(VALU_DEP_3) | instskip(NEXT) | instid1(VALU_DEP_4)
	v_and_b32_e32 v6, 0x80, v6
	v_and_b32_e32 v3, 0x80, v3
	s_mov_b32 s9, -1
	s_mov_b32 s8, exec_lo
	s_delay_alu instid0(VALU_DEP_2) | instskip(NEXT) | instid1(VALU_DEP_2)
	v_and_or_b32 v6, 0xff, v7, v6
	v_and_or_b32 v3, 0xff, v12, v3
	v_and_b32_e32 v7, 0xff, v11
	v_dual_mov_b32 v11, v1 :: v_dual_add_nc_u32 v12, s2, v0
	s_delay_alu instid0(VALU_DEP_3) | instskip(NEXT) | instid1(VALU_DEP_1)
	v_dual_lshlrev_b32 v6, 16, v6 :: v_dual_lshlrev_b32 v8, 8, v3
	v_or3_b32 v4, v5, v4, v6
	s_delay_alu instid0(VALU_DEP_4) | instskip(NEXT) | instid1(VALU_DEP_4)
	v_and_or_b32 v5, 0x80, v2, v7
	v_lshl_add_u64 v[2:3], v[10:11], 2, s[0:1]
	s_delay_alu instid0(VALU_DEP_2)
	v_or3_b32 v4, v4, v8, v5
	global_store_b32 v[2:3], v4, off
	s_wait_xcnt 0x0
	v_cmpx_gt_u32_e64 s33, v12
	s_cbranch_execz .LBB0_73
; %bb.125:                              ;   in Loop: Header=BB0_75 Depth=1
	s_clause 0x2
	global_load_b128 v[6:9], v12, s[10:11] scale_offset
	global_load_b128 v[16:19], v12, s[16:17] scale_offset
	;; [unrolled: 1-line block ×3, first 2 shown]
	s_mov_b32 s9, exec_lo
	s_wait_loadcnt 0x1
	v_pk_add_f32 v[6:7], v[6:7], v[16:17]
	v_pk_add_f32 v[8:9], v[8:9], v[18:19]
	s_delay_alu instid0(VALU_DEP_2) | instskip(SKIP_3) | instid1(VALU_DEP_1)
	v_mul_f32_e32 v11, v14, v6
	global_store_b128 v12, v[6:9], s[16:17] scale_offset
	s_wait_loadcnt 0x0
	v_mul_f32_e32 v2, v2, v11
	v_div_scale_f32 v11, null, v15, v15, v2
	v_div_scale_f32 v17, vcc_lo, v2, v15, v2
	s_delay_alu instid0(VALU_DEP_2) | instskip(SKIP_1) | instid1(TRANS32_DEP_1)
	v_rcp_f32_e32 v13, v11
	v_nop
	v_fma_f32 v16, -v11, v13, 1.0
	s_delay_alu instid0(VALU_DEP_1) | instskip(NEXT) | instid1(VALU_DEP_1)
	v_fmac_f32_e32 v13, v16, v13
	v_mul_f32_e32 v16, v17, v13
	s_delay_alu instid0(VALU_DEP_1) | instskip(NEXT) | instid1(VALU_DEP_1)
	v_fma_f32 v20, -v11, v16, v17
	v_fmac_f32_e32 v16, v20, v13
	s_delay_alu instid0(VALU_DEP_1) | instskip(NEXT) | instid1(VALU_DEP_1)
	v_fma_f32 v11, -v11, v16, v17
	v_div_fmas_f32 v11, v11, v13, v16
	v_mov_b32_e32 v13, 0x7f
	s_delay_alu instid0(VALU_DEP_2) | instskip(SKIP_1) | instid1(VALU_DEP_2)
	v_div_fixup_f32 v2, v11, v15, v2
	v_mov_b32_e32 v11, 0x7f
	v_minmax_num_f32 v2, v2, s5, 0xc3e00000
	s_delay_alu instid0(VALU_DEP_1) | instskip(SKIP_1) | instid1(VALU_DEP_1)
	v_and_b32_e32 v16, 0x7fffffff, v2
	s_wait_xcnt 0x0
	v_cmpx_gt_u32_e32 0x43f00000, v16
	s_cbranch_execz .LBB0_131
; %bb.126:                              ;   in Loop: Header=BB0_75 Depth=1
	s_mov_b32 s12, exec_lo
                                        ; implicit-def: $vgpr11
	v_cmpx_lt_u32_e32 0x3c7fffff, v16
	s_xor_b32 s12, exec_lo, s12
; %bb.127:                              ;   in Loop: Header=BB0_75 Depth=1
	v_bfe_u32 v6, v2, 20, 1
	s_delay_alu instid0(VALU_DEP_1) | instskip(NEXT) | instid1(VALU_DEP_1)
	v_add3_u32 v6, v2, v6, 0x407ffff
	v_lshrrev_b32_e32 v11, 20, v6
; %bb.128:                              ;   in Loop: Header=BB0_75 Depth=1
	s_and_not1_saveexec_b32 s12, s12
; %bb.129:                              ;   in Loop: Header=BB0_75 Depth=1
	v_add_f32_e64 v11, 0x46800000, |v2|
; %bb.130:                              ;   in Loop: Header=BB0_75 Depth=1
	s_or_b32 exec_lo, exec_lo, s12
.LBB0_131:                              ;   in Loop: Header=BB0_75 Depth=1
	s_delay_alu instid0(SALU_CYCLE_1) | instskip(SKIP_2) | instid1(VALU_DEP_1)
	s_or_b32 exec_lo, exec_lo, s9
	v_mul_f32_e32 v6, v14, v7
	s_mov_b32 s9, exec_lo
	v_mul_f32_e32 v3, v3, v6
	s_delay_alu instid0(VALU_DEP_1) | instskip(NEXT) | instid1(VALU_DEP_1)
	v_div_scale_f32 v6, null, v15, v15, v3
	v_rcp_f32_e32 v7, v6
	v_nop
	s_delay_alu instid0(TRANS32_DEP_1) | instskip(NEXT) | instid1(VALU_DEP_1)
	v_fma_f32 v16, -v6, v7, 1.0
	v_fmac_f32_e32 v7, v16, v7
	v_div_scale_f32 v16, vcc_lo, v3, v15, v3
	s_delay_alu instid0(VALU_DEP_1) | instskip(NEXT) | instid1(VALU_DEP_1)
	v_mul_f32_e32 v17, v16, v7
	v_fma_f32 v18, -v6, v17, v16
	s_delay_alu instid0(VALU_DEP_1) | instskip(NEXT) | instid1(VALU_DEP_1)
	v_fmac_f32_e32 v17, v18, v7
	v_fma_f32 v6, -v6, v17, v16
	s_delay_alu instid0(VALU_DEP_1) | instskip(NEXT) | instid1(VALU_DEP_1)
	v_div_fmas_f32 v6, v6, v7, v17
	v_div_fixup_f32 v3, v6, v15, v3
	s_delay_alu instid0(VALU_DEP_1) | instskip(NEXT) | instid1(VALU_DEP_1)
	v_minmax_num_f32 v3, v3, s5, 0xc3e00000
	v_and_b32_e32 v6, 0x7fffffff, v3
	s_delay_alu instid0(VALU_DEP_1)
	v_cmpx_gt_u32_e32 0x43f00000, v6
	s_cbranch_execz .LBB0_137
; %bb.132:                              ;   in Loop: Header=BB0_75 Depth=1
	s_mov_b32 s12, exec_lo
                                        ; implicit-def: $vgpr13
	v_cmpx_lt_u32_e32 0x3c7fffff, v6
	s_xor_b32 s12, exec_lo, s12
; %bb.133:                              ;   in Loop: Header=BB0_75 Depth=1
	v_bfe_u32 v6, v3, 20, 1
	s_delay_alu instid0(VALU_DEP_1) | instskip(NEXT) | instid1(VALU_DEP_1)
	v_add3_u32 v6, v3, v6, 0x407ffff
	v_lshrrev_b32_e32 v13, 20, v6
; %bb.134:                              ;   in Loop: Header=BB0_75 Depth=1
	s_and_not1_saveexec_b32 s12, s12
; %bb.135:                              ;   in Loop: Header=BB0_75 Depth=1
	v_add_f32_e64 v13, 0x46800000, |v3|
; %bb.136:                              ;   in Loop: Header=BB0_75 Depth=1
	s_or_b32 exec_lo, exec_lo, s12
.LBB0_137:                              ;   in Loop: Header=BB0_75 Depth=1
	s_delay_alu instid0(SALU_CYCLE_1) | instskip(SKIP_2) | instid1(VALU_DEP_1)
	s_or_b32 exec_lo, exec_lo, s9
	v_mul_f32_e32 v6, v14, v8
	s_mov_b32 s9, exec_lo
	v_mul_f32_e32 v4, v4, v6
	s_delay_alu instid0(VALU_DEP_1) | instskip(SKIP_1) | instid1(VALU_DEP_2)
	v_div_scale_f32 v6, null, v15, v15, v4
	v_div_scale_f32 v16, vcc_lo, v4, v15, v4
	v_rcp_f32_e32 v7, v6
	v_nop
	s_delay_alu instid0(TRANS32_DEP_1) | instskip(NEXT) | instid1(VALU_DEP_1)
	v_fma_f32 v8, -v6, v7, 1.0
	v_fmac_f32_e32 v7, v8, v7
	s_delay_alu instid0(VALU_DEP_1) | instskip(NEXT) | instid1(VALU_DEP_1)
	v_mul_f32_e32 v8, v16, v7
	v_fma_f32 v17, -v6, v8, v16
	s_delay_alu instid0(VALU_DEP_1) | instskip(NEXT) | instid1(VALU_DEP_1)
	v_fmac_f32_e32 v8, v17, v7
	v_fma_f32 v6, -v6, v8, v16
	s_delay_alu instid0(VALU_DEP_1) | instskip(SKIP_1) | instid1(VALU_DEP_2)
	v_div_fmas_f32 v6, v6, v7, v8
	v_mov_b32_e32 v7, 0x7f
	v_div_fixup_f32 v4, v6, v15, v4
	s_delay_alu instid0(VALU_DEP_1) | instskip(SKIP_1) | instid1(VALU_DEP_2)
	v_minmax_num_f32 v6, v4, s5, 0xc3e00000
	v_mov_b32_e32 v4, 0x7f
	v_and_b32_e32 v8, 0x7fffffff, v6
	s_delay_alu instid0(VALU_DEP_1)
	v_cmpx_gt_u32_e32 0x43f00000, v8
	s_cbranch_execz .LBB0_143
; %bb.138:                              ;   in Loop: Header=BB0_75 Depth=1
	s_mov_b32 s12, exec_lo
                                        ; implicit-def: $vgpr7
	v_cmpx_lt_u32_e32 0x3c7fffff, v8
	s_xor_b32 s12, exec_lo, s12
; %bb.139:                              ;   in Loop: Header=BB0_75 Depth=1
	v_bfe_u32 v7, v6, 20, 1
	s_delay_alu instid0(VALU_DEP_1) | instskip(NEXT) | instid1(VALU_DEP_1)
	v_add3_u32 v7, v6, v7, 0x407ffff
	v_lshrrev_b32_e32 v7, 20, v7
; %bb.140:                              ;   in Loop: Header=BB0_75 Depth=1
	s_and_not1_saveexec_b32 s12, s12
; %bb.141:                              ;   in Loop: Header=BB0_75 Depth=1
	v_add_f32_e64 v7, 0x46800000, |v6|
; %bb.142:                              ;   in Loop: Header=BB0_75 Depth=1
	s_or_b32 exec_lo, exec_lo, s12
.LBB0_143:                              ;   in Loop: Header=BB0_75 Depth=1
	s_delay_alu instid0(SALU_CYCLE_1) | instskip(SKIP_2) | instid1(VALU_DEP_1)
	s_or_b32 exec_lo, exec_lo, s9
	v_mul_f32_e32 v8, v14, v9
	s_mov_b32 s9, exec_lo
	v_mul_f32_e32 v5, v5, v8
	s_delay_alu instid0(VALU_DEP_1) | instskip(NEXT) | instid1(VALU_DEP_1)
	v_div_scale_f32 v8, null, v15, v15, v5
	v_rcp_f32_e32 v9, v8
	v_nop
	s_delay_alu instid0(TRANS32_DEP_1) | instskip(NEXT) | instid1(VALU_DEP_1)
	v_fma_f32 v16, -v8, v9, 1.0
	v_fmac_f32_e32 v9, v16, v9
	v_div_scale_f32 v16, vcc_lo, v5, v15, v5
	s_delay_alu instid0(VALU_DEP_1) | instskip(NEXT) | instid1(VALU_DEP_1)
	v_mul_f32_e32 v17, v16, v9
	v_fma_f32 v18, -v8, v17, v16
	s_delay_alu instid0(VALU_DEP_1) | instskip(NEXT) | instid1(VALU_DEP_1)
	v_fmac_f32_e32 v17, v18, v9
	v_fma_f32 v8, -v8, v17, v16
	s_delay_alu instid0(VALU_DEP_1) | instskip(NEXT) | instid1(VALU_DEP_1)
	v_div_fmas_f32 v8, v8, v9, v17
	v_div_fixup_f32 v5, v8, v15, v5
	s_delay_alu instid0(VALU_DEP_1) | instskip(NEXT) | instid1(VALU_DEP_1)
	v_minmax_num_f32 v5, v5, s5, 0xc3e00000
	v_and_b32_e32 v8, 0x7fffffff, v5
	s_delay_alu instid0(VALU_DEP_1)
	v_cmpx_gt_u32_e32 0x43f00000, v8
	s_cbranch_execz .LBB0_149
; %bb.144:                              ;   in Loop: Header=BB0_75 Depth=1
	s_mov_b32 s12, exec_lo
                                        ; implicit-def: $vgpr4
	v_cmpx_lt_u32_e32 0x3c7fffff, v8
	s_xor_b32 s12, exec_lo, s12
; %bb.145:                              ;   in Loop: Header=BB0_75 Depth=1
	v_bfe_u32 v4, v5, 20, 1
	s_delay_alu instid0(VALU_DEP_1) | instskip(NEXT) | instid1(VALU_DEP_1)
	v_add3_u32 v4, v5, v4, 0x407ffff
	v_lshrrev_b32_e32 v4, 20, v4
; %bb.146:                              ;   in Loop: Header=BB0_75 Depth=1
	s_and_not1_saveexec_b32 s12, s12
; %bb.147:                              ;   in Loop: Header=BB0_75 Depth=1
	v_add_f32_e64 v4, 0x46800000, |v5|
; %bb.148:                              ;   in Loop: Header=BB0_75 Depth=1
	s_or_b32 exec_lo, exec_lo, s12
.LBB0_149:                              ;   in Loop: Header=BB0_75 Depth=1
	s_delay_alu instid0(SALU_CYCLE_1) | instskip(SKIP_1) | instid1(VALU_DEP_2)
	s_or_b32 exec_lo, exec_lo, s9
	v_dual_lshrrev_b32 v6, 24, v6 :: v_dual_lshrrev_b32 v3, 24, v3
	v_dual_lshrrev_b32 v2, 24, v2 :: v_dual_lshlrev_b32 v4, 24, v4
	v_and_b32_e32 v5, 0x80000000, v5
	s_delay_alu instid0(VALU_DEP_3) | instskip(NEXT) | instid1(VALU_DEP_4)
	v_and_b32_e32 v6, 0x80, v6
	v_and_b32_e32 v3, 0x80, v3
	s_mov_b32 s12, -1
	s_mov_b32 s9, exec_lo
	v_add_nc_u32_e32 v0, s3, v0
	v_and_or_b32 v6, 0xff, v7, v6
	v_and_or_b32 v3, 0xff, v13, v3
	v_and_b32_e32 v7, 0xff, v11
	s_delay_alu instid0(VALU_DEP_3) | instskip(NEXT) | instid1(VALU_DEP_3)
	v_dual_mov_b32 v13, v1 :: v_dual_lshlrev_b32 v6, 16, v6
	v_lshlrev_b32_e32 v8, 8, v3
	s_delay_alu instid0(VALU_DEP_2) | instskip(NEXT) | instid1(VALU_DEP_4)
	v_or3_b32 v4, v5, v4, v6
	v_and_or_b32 v5, 0x80, v2, v7
	s_delay_alu instid0(VALU_DEP_4) | instskip(NEXT) | instid1(VALU_DEP_2)
	v_lshl_add_u64 v[2:3], v[12:13], 2, s[0:1]
	v_or3_b32 v4, v4, v8, v5
	global_store_b32 v[2:3], v4, off
	s_wait_xcnt 0x0
	v_cmpx_gt_u32_e64 s33, v0
	s_cbranch_execz .LBB0_72
; %bb.150:                              ;   in Loop: Header=BB0_75 Depth=1
	s_clause 0x2
	global_load_b128 v[6:9], v0, s[10:11] scale_offset
	global_load_b128 v[16:19], v0, s[16:17] scale_offset
	;; [unrolled: 1-line block ×3, first 2 shown]
	s_mov_b32 s12, exec_lo
	s_wait_loadcnt 0x1
	v_pk_add_f32 v[6:7], v[6:7], v[16:17]
	v_pk_add_f32 v[8:9], v[8:9], v[18:19]
	s_delay_alu instid0(VALU_DEP_2) | instskip(SKIP_3) | instid1(VALU_DEP_1)
	v_mul_f32_e32 v11, v14, v6
	global_store_b128 v0, v[6:9], s[16:17] scale_offset
	s_wait_loadcnt 0x0
	v_mul_f32_e32 v2, v2, v11
	v_div_scale_f32 v11, null, v15, v15, v2
	v_div_scale_f32 v16, vcc_lo, v2, v15, v2
	s_delay_alu instid0(VALU_DEP_2) | instskip(SKIP_1) | instid1(TRANS32_DEP_1)
	v_rcp_f32_e32 v12, v11
	v_nop
	v_fma_f32 v13, -v11, v12, 1.0
	s_delay_alu instid0(VALU_DEP_1) | instskip(NEXT) | instid1(VALU_DEP_1)
	v_fmac_f32_e32 v12, v13, v12
	v_mul_f32_e32 v13, v16, v12
	s_delay_alu instid0(VALU_DEP_1) | instskip(NEXT) | instid1(VALU_DEP_1)
	v_fma_f32 v17, -v11, v13, v16
	v_fmac_f32_e32 v13, v17, v12
	s_delay_alu instid0(VALU_DEP_1) | instskip(NEXT) | instid1(VALU_DEP_1)
	v_fma_f32 v11, -v11, v13, v16
	v_div_fmas_f32 v11, v11, v12, v13
	v_mov_b32_e32 v12, 0x7f
	s_delay_alu instid0(VALU_DEP_2) | instskip(SKIP_1) | instid1(VALU_DEP_2)
	v_div_fixup_f32 v2, v11, v15, v2
	v_mov_b32_e32 v11, 0x7f
	v_minmax_num_f32 v2, v2, s5, 0xc3e00000
	s_delay_alu instid0(VALU_DEP_1) | instskip(SKIP_1) | instid1(VALU_DEP_1)
	v_and_b32_e32 v13, 0x7fffffff, v2
	s_wait_xcnt 0x0
	v_cmpx_gt_u32_e32 0x43f00000, v13
	s_cbranch_execz .LBB0_156
; %bb.151:                              ;   in Loop: Header=BB0_75 Depth=1
	s_mov_b32 s13, exec_lo
                                        ; implicit-def: $vgpr11
	v_cmpx_lt_u32_e32 0x3c7fffff, v13
	s_xor_b32 s13, exec_lo, s13
; %bb.152:                              ;   in Loop: Header=BB0_75 Depth=1
	v_bfe_u32 v6, v2, 20, 1
	s_delay_alu instid0(VALU_DEP_1) | instskip(NEXT) | instid1(VALU_DEP_1)
	v_add3_u32 v6, v2, v6, 0x407ffff
	v_lshrrev_b32_e32 v11, 20, v6
; %bb.153:                              ;   in Loop: Header=BB0_75 Depth=1
	s_and_not1_saveexec_b32 s13, s13
; %bb.154:                              ;   in Loop: Header=BB0_75 Depth=1
	v_add_f32_e64 v11, 0x46800000, |v2|
; %bb.155:                              ;   in Loop: Header=BB0_75 Depth=1
	s_or_b32 exec_lo, exec_lo, s13
.LBB0_156:                              ;   in Loop: Header=BB0_75 Depth=1
	s_delay_alu instid0(SALU_CYCLE_1) | instskip(SKIP_2) | instid1(VALU_DEP_1)
	s_or_b32 exec_lo, exec_lo, s12
	v_mul_f32_e32 v6, v14, v7
	s_mov_b32 s12, exec_lo
	v_mul_f32_e32 v3, v3, v6
	s_delay_alu instid0(VALU_DEP_1) | instskip(NEXT) | instid1(VALU_DEP_1)
	v_div_scale_f32 v6, null, v15, v15, v3
	v_rcp_f32_e32 v7, v6
	v_nop
	s_delay_alu instid0(TRANS32_DEP_1) | instskip(NEXT) | instid1(VALU_DEP_1)
	v_fma_f32 v13, -v6, v7, 1.0
	v_fmac_f32_e32 v7, v13, v7
	v_div_scale_f32 v13, vcc_lo, v3, v15, v3
	s_delay_alu instid0(VALU_DEP_1) | instskip(NEXT) | instid1(VALU_DEP_1)
	v_mul_f32_e32 v16, v13, v7
	v_fma_f32 v17, -v6, v16, v13
	s_delay_alu instid0(VALU_DEP_1) | instskip(NEXT) | instid1(VALU_DEP_1)
	v_fmac_f32_e32 v16, v17, v7
	v_fma_f32 v6, -v6, v16, v13
	s_delay_alu instid0(VALU_DEP_1) | instskip(NEXT) | instid1(VALU_DEP_1)
	v_div_fmas_f32 v6, v6, v7, v16
	v_div_fixup_f32 v3, v6, v15, v3
	s_delay_alu instid0(VALU_DEP_1) | instskip(NEXT) | instid1(VALU_DEP_1)
	v_minmax_num_f32 v3, v3, s5, 0xc3e00000
	v_and_b32_e32 v6, 0x7fffffff, v3
	s_delay_alu instid0(VALU_DEP_1)
	v_cmpx_gt_u32_e32 0x43f00000, v6
	s_cbranch_execz .LBB0_162
; %bb.157:                              ;   in Loop: Header=BB0_75 Depth=1
	s_mov_b32 s13, exec_lo
                                        ; implicit-def: $vgpr12
	v_cmpx_lt_u32_e32 0x3c7fffff, v6
	s_xor_b32 s13, exec_lo, s13
; %bb.158:                              ;   in Loop: Header=BB0_75 Depth=1
	v_bfe_u32 v6, v3, 20, 1
	s_delay_alu instid0(VALU_DEP_1) | instskip(NEXT) | instid1(VALU_DEP_1)
	v_add3_u32 v6, v3, v6, 0x407ffff
	v_lshrrev_b32_e32 v12, 20, v6
; %bb.159:                              ;   in Loop: Header=BB0_75 Depth=1
	s_and_not1_saveexec_b32 s13, s13
; %bb.160:                              ;   in Loop: Header=BB0_75 Depth=1
	v_add_f32_e64 v12, 0x46800000, |v3|
; %bb.161:                              ;   in Loop: Header=BB0_75 Depth=1
	s_or_b32 exec_lo, exec_lo, s13
.LBB0_162:                              ;   in Loop: Header=BB0_75 Depth=1
	s_delay_alu instid0(SALU_CYCLE_1) | instskip(SKIP_2) | instid1(VALU_DEP_1)
	s_or_b32 exec_lo, exec_lo, s12
	v_mul_f32_e32 v6, v14, v8
	s_mov_b32 s12, exec_lo
	v_mul_f32_e32 v4, v4, v6
	s_delay_alu instid0(VALU_DEP_1) | instskip(SKIP_1) | instid1(VALU_DEP_2)
	v_div_scale_f32 v6, null, v15, v15, v4
	v_div_scale_f32 v13, vcc_lo, v4, v15, v4
	v_rcp_f32_e32 v7, v6
	v_nop
	s_delay_alu instid0(TRANS32_DEP_1) | instskip(NEXT) | instid1(VALU_DEP_1)
	v_fma_f32 v8, -v6, v7, 1.0
	v_fmac_f32_e32 v7, v8, v7
	s_delay_alu instid0(VALU_DEP_1) | instskip(NEXT) | instid1(VALU_DEP_1)
	v_mul_f32_e32 v8, v13, v7
	v_fma_f32 v16, -v6, v8, v13
	s_delay_alu instid0(VALU_DEP_1) | instskip(NEXT) | instid1(VALU_DEP_1)
	v_fmac_f32_e32 v8, v16, v7
	v_fma_f32 v6, -v6, v8, v13
	s_delay_alu instid0(VALU_DEP_1) | instskip(SKIP_1) | instid1(VALU_DEP_2)
	v_div_fmas_f32 v6, v6, v7, v8
	v_mov_b32_e32 v7, 0x7f
	v_div_fixup_f32 v4, v6, v15, v4
	s_delay_alu instid0(VALU_DEP_1) | instskip(SKIP_1) | instid1(VALU_DEP_2)
	v_minmax_num_f32 v6, v4, s5, 0xc3e00000
	v_mov_b32_e32 v4, 0x7f
	v_and_b32_e32 v8, 0x7fffffff, v6
	s_delay_alu instid0(VALU_DEP_1)
	v_cmpx_gt_u32_e32 0x43f00000, v8
	s_cbranch_execz .LBB0_168
; %bb.163:                              ;   in Loop: Header=BB0_75 Depth=1
	s_mov_b32 s13, exec_lo
                                        ; implicit-def: $vgpr7
	v_cmpx_lt_u32_e32 0x3c7fffff, v8
	s_xor_b32 s13, exec_lo, s13
; %bb.164:                              ;   in Loop: Header=BB0_75 Depth=1
	v_bfe_u32 v7, v6, 20, 1
	s_delay_alu instid0(VALU_DEP_1) | instskip(NEXT) | instid1(VALU_DEP_1)
	v_add3_u32 v7, v6, v7, 0x407ffff
	v_lshrrev_b32_e32 v7, 20, v7
; %bb.165:                              ;   in Loop: Header=BB0_75 Depth=1
	s_and_not1_saveexec_b32 s13, s13
; %bb.166:                              ;   in Loop: Header=BB0_75 Depth=1
	v_add_f32_e64 v7, 0x46800000, |v6|
; %bb.167:                              ;   in Loop: Header=BB0_75 Depth=1
	s_or_b32 exec_lo, exec_lo, s13
.LBB0_168:                              ;   in Loop: Header=BB0_75 Depth=1
	s_delay_alu instid0(SALU_CYCLE_1) | instskip(SKIP_2) | instid1(VALU_DEP_1)
	s_or_b32 exec_lo, exec_lo, s12
	v_mul_f32_e32 v8, v14, v9
	s_mov_b32 s12, exec_lo
	v_mul_f32_e32 v5, v5, v8
	s_delay_alu instid0(VALU_DEP_1) | instskip(NEXT) | instid1(VALU_DEP_1)
	v_div_scale_f32 v8, null, v15, v15, v5
	v_rcp_f32_e32 v9, v8
	v_nop
	s_delay_alu instid0(TRANS32_DEP_1) | instskip(NEXT) | instid1(VALU_DEP_1)
	v_fma_f32 v13, -v8, v9, 1.0
	v_fmac_f32_e32 v9, v13, v9
	v_div_scale_f32 v13, vcc_lo, v5, v15, v5
	s_delay_alu instid0(VALU_DEP_1) | instskip(NEXT) | instid1(VALU_DEP_1)
	v_mul_f32_e32 v16, v13, v9
	v_fma_f32 v17, -v8, v16, v13
	s_delay_alu instid0(VALU_DEP_1) | instskip(NEXT) | instid1(VALU_DEP_1)
	v_fmac_f32_e32 v16, v17, v9
	v_fma_f32 v8, -v8, v16, v13
	s_delay_alu instid0(VALU_DEP_1) | instskip(NEXT) | instid1(VALU_DEP_1)
	v_div_fmas_f32 v8, v8, v9, v16
	v_div_fixup_f32 v5, v8, v15, v5
	s_delay_alu instid0(VALU_DEP_1) | instskip(NEXT) | instid1(VALU_DEP_1)
	v_minmax_num_f32 v5, v5, s5, 0xc3e00000
	v_and_b32_e32 v8, 0x7fffffff, v5
	s_delay_alu instid0(VALU_DEP_1)
	v_cmpx_gt_u32_e32 0x43f00000, v8
	s_cbranch_execz .LBB0_71
; %bb.169:                              ;   in Loop: Header=BB0_75 Depth=1
	s_mov_b32 s13, exec_lo
                                        ; implicit-def: $vgpr4
	v_cmpx_lt_u32_e32 0x3c7fffff, v8
	s_xor_b32 s13, exec_lo, s13
; %bb.170:                              ;   in Loop: Header=BB0_75 Depth=1
	v_bfe_u32 v4, v5, 20, 1
	s_delay_alu instid0(VALU_DEP_1) | instskip(NEXT) | instid1(VALU_DEP_1)
	v_add3_u32 v4, v5, v4, 0x407ffff
	v_lshrrev_b32_e32 v4, 20, v4
; %bb.171:                              ;   in Loop: Header=BB0_75 Depth=1
	s_and_not1_saveexec_b32 s13, s13
	s_cbranch_execz .LBB0_70
; %bb.172:                              ;   in Loop: Header=BB0_75 Depth=1
	v_add_f32_e64 v4, 0x46800000, |v5|
	s_branch .LBB0_70
.LBB0_173:
	s_endpgm
	.section	.rodata,"a",@progbits
	.p2align	6, 0x0
	.amdhsa_kernel _ZN4vllm39rms_norm_dynamic_per_token_quant_kernelIfN3c1013Float8_e4m3fnELb1EEEvPT0_PfPKT_S8_PKffiPS6_
		.amdhsa_group_segment_fixed_size 272
		.amdhsa_private_segment_fixed_size 0
		.amdhsa_kernarg_size 312
		.amdhsa_user_sgpr_count 2
		.amdhsa_user_sgpr_dispatch_ptr 0
		.amdhsa_user_sgpr_queue_ptr 0
		.amdhsa_user_sgpr_kernarg_segment_ptr 1
		.amdhsa_user_sgpr_dispatch_id 0
		.amdhsa_user_sgpr_kernarg_preload_length 0
		.amdhsa_user_sgpr_kernarg_preload_offset 0
		.amdhsa_user_sgpr_private_segment_size 0
		.amdhsa_wavefront_size32 1
		.amdhsa_uses_dynamic_stack 0
		.amdhsa_enable_private_segment 0
		.amdhsa_system_sgpr_workgroup_id_x 1
		.amdhsa_system_sgpr_workgroup_id_y 0
		.amdhsa_system_sgpr_workgroup_id_z 0
		.amdhsa_system_sgpr_workgroup_info 0
		.amdhsa_system_vgpr_workitem_id 0
		.amdhsa_next_free_vgpr 28
		.amdhsa_next_free_sgpr 40
		.amdhsa_named_barrier_count 0
		.amdhsa_reserve_vcc 1
		.amdhsa_float_round_mode_32 0
		.amdhsa_float_round_mode_16_64 0
		.amdhsa_float_denorm_mode_32 3
		.amdhsa_float_denorm_mode_16_64 3
		.amdhsa_fp16_overflow 0
		.amdhsa_memory_ordered 1
		.amdhsa_forward_progress 1
		.amdhsa_inst_pref_size 84
		.amdhsa_round_robin_scheduling 0
		.amdhsa_exception_fp_ieee_invalid_op 0
		.amdhsa_exception_fp_denorm_src 0
		.amdhsa_exception_fp_ieee_div_zero 0
		.amdhsa_exception_fp_ieee_overflow 0
		.amdhsa_exception_fp_ieee_underflow 0
		.amdhsa_exception_fp_ieee_inexact 0
		.amdhsa_exception_int_div_zero 0
	.end_amdhsa_kernel
	.section	.text._ZN4vllm39rms_norm_dynamic_per_token_quant_kernelIfN3c1013Float8_e4m3fnELb1EEEvPT0_PfPKT_S8_PKffiPS6_,"axG",@progbits,_ZN4vllm39rms_norm_dynamic_per_token_quant_kernelIfN3c1013Float8_e4m3fnELb1EEEvPT0_PfPKT_S8_PKffiPS6_,comdat
.Lfunc_end0:
	.size	_ZN4vllm39rms_norm_dynamic_per_token_quant_kernelIfN3c1013Float8_e4m3fnELb1EEEvPT0_PfPKT_S8_PKffiPS6_, .Lfunc_end0-_ZN4vllm39rms_norm_dynamic_per_token_quant_kernelIfN3c1013Float8_e4m3fnELb1EEEvPT0_PfPKT_S8_PKffiPS6_
                                        ; -- End function
	.set _ZN4vllm39rms_norm_dynamic_per_token_quant_kernelIfN3c1013Float8_e4m3fnELb1EEEvPT0_PfPKT_S8_PKffiPS6_.num_vgpr, 28
	.set _ZN4vllm39rms_norm_dynamic_per_token_quant_kernelIfN3c1013Float8_e4m3fnELb1EEEvPT0_PfPKT_S8_PKffiPS6_.num_agpr, 0
	.set _ZN4vllm39rms_norm_dynamic_per_token_quant_kernelIfN3c1013Float8_e4m3fnELb1EEEvPT0_PfPKT_S8_PKffiPS6_.numbered_sgpr, 40
	.set _ZN4vllm39rms_norm_dynamic_per_token_quant_kernelIfN3c1013Float8_e4m3fnELb1EEEvPT0_PfPKT_S8_PKffiPS6_.num_named_barrier, 0
	.set _ZN4vllm39rms_norm_dynamic_per_token_quant_kernelIfN3c1013Float8_e4m3fnELb1EEEvPT0_PfPKT_S8_PKffiPS6_.private_seg_size, 0
	.set _ZN4vllm39rms_norm_dynamic_per_token_quant_kernelIfN3c1013Float8_e4m3fnELb1EEEvPT0_PfPKT_S8_PKffiPS6_.uses_vcc, 1
	.set _ZN4vllm39rms_norm_dynamic_per_token_quant_kernelIfN3c1013Float8_e4m3fnELb1EEEvPT0_PfPKT_S8_PKffiPS6_.uses_flat_scratch, 0
	.set _ZN4vllm39rms_norm_dynamic_per_token_quant_kernelIfN3c1013Float8_e4m3fnELb1EEEvPT0_PfPKT_S8_PKffiPS6_.has_dyn_sized_stack, 0
	.set _ZN4vllm39rms_norm_dynamic_per_token_quant_kernelIfN3c1013Float8_e4m3fnELb1EEEvPT0_PfPKT_S8_PKffiPS6_.has_recursion, 0
	.set _ZN4vllm39rms_norm_dynamic_per_token_quant_kernelIfN3c1013Float8_e4m3fnELb1EEEvPT0_PfPKT_S8_PKffiPS6_.has_indirect_call, 0
	.section	.AMDGPU.csdata,"",@progbits
; Kernel info:
; codeLenInByte = 10644
; TotalNumSgprs: 42
; NumVgprs: 28
; ScratchSize: 0
; MemoryBound: 0
; FloatMode: 240
; IeeeMode: 1
; LDSByteSize: 272 bytes/workgroup (compile time only)
; SGPRBlocks: 0
; VGPRBlocks: 1
; NumSGPRsForWavesPerEU: 42
; NumVGPRsForWavesPerEU: 28
; NamedBarCnt: 0
; Occupancy: 16
; WaveLimiterHint : 0
; COMPUTE_PGM_RSRC2:SCRATCH_EN: 0
; COMPUTE_PGM_RSRC2:USER_SGPR: 2
; COMPUTE_PGM_RSRC2:TRAP_HANDLER: 0
; COMPUTE_PGM_RSRC2:TGID_X_EN: 1
; COMPUTE_PGM_RSRC2:TGID_Y_EN: 0
; COMPUTE_PGM_RSRC2:TGID_Z_EN: 0
; COMPUTE_PGM_RSRC2:TIDIG_COMP_CNT: 0
	.section	.text._ZN4vllm39rms_norm_dynamic_per_token_quant_kernelIfN3c1015Float8_e4m3fnuzELb1EEEvPT0_PfPKT_S8_PKffiPS6_,"axG",@progbits,_ZN4vllm39rms_norm_dynamic_per_token_quant_kernelIfN3c1015Float8_e4m3fnuzELb1EEEvPT0_PfPKT_S8_PKffiPS6_,comdat
	.protected	_ZN4vllm39rms_norm_dynamic_per_token_quant_kernelIfN3c1015Float8_e4m3fnuzELb1EEEvPT0_PfPKT_S8_PKffiPS6_ ; -- Begin function _ZN4vllm39rms_norm_dynamic_per_token_quant_kernelIfN3c1015Float8_e4m3fnuzELb1EEEvPT0_PfPKT_S8_PKffiPS6_
	.globl	_ZN4vllm39rms_norm_dynamic_per_token_quant_kernelIfN3c1015Float8_e4m3fnuzELb1EEEvPT0_PfPKT_S8_PKffiPS6_
	.p2align	8
	.type	_ZN4vllm39rms_norm_dynamic_per_token_quant_kernelIfN3c1015Float8_e4m3fnuzELb1EEEvPT0_PfPKT_S8_PKffiPS6_,@function
_ZN4vllm39rms_norm_dynamic_per_token_quant_kernelIfN3c1015Float8_e4m3fnuzELb1EEEvPT0_PfPKT_S8_PKffiPS6_: ; @_ZN4vllm39rms_norm_dynamic_per_token_quant_kernelIfN3c1015Float8_e4m3fnuzELb1EEEvPT0_PfPKT_S8_PKffiPS6_
; %bb.0:
	s_clause 0x2
	s_load_b128 s[20:23], s[0:1], 0x20
	s_load_b256 s[12:19], s[0:1], 0x0
	s_load_b64 s[30:31], s[0:1], 0x30
	s_mov_b32 s29, 0
	s_getreg_b32 s33, hwreg(HW_REG_IB_STS2, 6, 4)
	s_add_nc_u64 s[24:25], s[0:1], 56
	s_wait_kmcnt 0x0
	s_and_b32 s2, s23, 3
	s_delay_alu instid0(SALU_CYCLE_1)
	s_cmp_lg_u32 s2, 0
	s_cbranch_scc0 .LBB1_35
; %bb.1:
	s_load_b32 s34, s[0:1], 0x38
	s_bfe_u32 s2, ttmp6, 0x4000c
	s_and_b32 s3, ttmp6, 15
	s_add_co_i32 s2, s2, 1
	v_mov_b32_e32 v1, 0
	s_mul_i32 s2, ttmp9, s2
	s_mov_b32 s4, s23
	s_add_co_i32 s3, s3, s2
	s_cmp_eq_u32 s33, 0
	v_cmp_gt_u32_e64 s2, s23, v0
	s_cselect_b32 s28, ttmp9, s3
	s_ashr_i32 s5, s23, 31
	s_delay_alu instid0(SALU_CYCLE_1)
	s_mul_u64 s[26:27], s[4:5], s[28:29]
	s_and_saveexec_b32 s3, s2
	s_cbranch_execz .LBB1_5
; %bb.2:
	s_wait_kmcnt 0x0
	s_cmp_lt_u32 s28, s34
	s_mov_b32 s5, 0
	s_cselect_b32 s4, 12, 18
	v_dual_mov_b32 v3, 0 :: v_dual_mov_b32 v1, 0
	s_add_nc_u64 s[6:7], s[24:25], s[4:5]
	v_mov_b32_e32 v2, v0
	s_load_u16 s4, s[6:7], 0x0
.LBB1_3:                                ; =>This Inner Loop Header: Depth=1
	s_delay_alu instid0(VALU_DEP_1) | instskip(NEXT) | instid1(VALU_DEP_1)
	v_add_nc_u64_e32 v[4:5], s[26:27], v[2:3]
	v_lshlrev_b64_e32 v[4:5], 2, v[4:5]
	s_delay_alu instid0(VALU_DEP_1)
	v_add_nc_u64_e32 v[6:7], s[16:17], v[4:5]
	v_add_nc_u64_e32 v[4:5], s[30:31], v[4:5]
	global_load_b32 v8, v[6:7], off
	global_load_b32 v9, v[4:5], off
	s_wait_loadcnt 0x0
	s_wait_kmcnt 0x0
	v_dual_add_nc_u32 v2, s4, v2 :: v_dual_add_f32 v4, v8, v9
	s_delay_alu instid0(VALU_DEP_1) | instskip(NEXT) | instid1(VALU_DEP_2)
	v_cmp_le_u32_e32 vcc_lo, s23, v2
	v_fmac_f32_e32 v1, v4, v4
	s_or_b32 s5, vcc_lo, s5
	s_delay_alu instid0(SALU_CYCLE_1)
	s_and_not1_b32 exec_lo, exec_lo, s5
	s_cbranch_execnz .LBB1_3
; %bb.4:
	s_or_b32 exec_lo, exec_lo, s5
.LBB1_5:
	s_delay_alu instid0(SALU_CYCLE_1) | instskip(SKIP_3) | instid1(VALU_DEP_2)
	s_or_b32 exec_lo, exec_lo, s3
	v_mbcnt_lo_u32_b32 v4, -1, 0
	s_load_b32 s3, s[24:25], 0xc
	v_and_b32_e32 v3, 0x3c0, v0
	v_cmp_ne_u32_e32 vcc_lo, 63, v4
	v_cmp_eq_u32_e64 s8, 0, v4
	v_dual_add_nc_u32 v5, 1, v4 :: v_dual_lshlrev_b32 v8, 2, v4
	v_add_co_ci_u32_e64 v2, null, 0, v4, vcc_lo
	v_cmp_gt_u32_e32 vcc_lo, 62, v4
	s_delay_alu instid0(VALU_DEP_2)
	v_lshlrev_b32_e32 v7, 2, v2
	v_cndmask_b32_e64 v6, 0, 2, vcc_lo
	v_cmp_gt_u32_e32 vcc_lo, 60, v4
	ds_bpermute_b32 v2, v7, v1
	s_wait_kmcnt 0x0
	s_and_b32 s36, s3, 0xffff
	v_add_lshl_u32 v9, v6, v4, 2
	v_sub_nc_u32_e64 v3, s36, v3 clamp
	v_add_nc_u32_e32 v6, 2, v4
	s_delay_alu instid0(VALU_DEP_2) | instskip(NEXT) | instid1(VALU_DEP_2)
	v_cmp_lt_u32_e64 s3, v5, v3
	v_cmp_lt_u32_e64 s4, v6, v3
	v_add_nc_u32_e32 v6, 4, v4
	v_cndmask_b32_e64 v5, 0, 4, vcc_lo
	v_cmp_gt_u32_e32 vcc_lo, 56, v4
	s_delay_alu instid0(VALU_DEP_3) | instskip(NEXT) | instid1(VALU_DEP_3)
	v_cmp_lt_u32_e64 s5, v6, v3
	v_add_lshl_u32 v10, v5, v4, 2
	v_cndmask_b32_e64 v5, 0, 8, vcc_lo
	v_cmp_gt_u32_e32 vcc_lo, 48, v4
	s_wait_dscnt 0x0
	v_dual_add_nc_u32 v6, 8, v4 :: v_dual_add_f32 v2, v1, v2
	s_delay_alu instid0(VALU_DEP_3) | instskip(SKIP_1) | instid1(VALU_DEP_3)
	v_add_lshl_u32 v11, v5, v4, 2
	v_cndmask_b32_e64 v5, 0, 16, vcc_lo
	v_cmp_lt_u32_e64 s6, v6, v3
	s_delay_alu instid0(VALU_DEP_4) | instskip(NEXT) | instid1(VALU_DEP_3)
	v_cndmask_b32_e64 v1, v1, v2, s3
	v_add_lshl_u32 v12, v5, v4, 2
	v_add_nc_u32_e32 v5, 16, v4
	ds_bpermute_b32 v2, v9, v1
	v_cmp_lt_u32_e64 s7, v5, v3
	v_or_b32_e32 v5, 32, v4
	s_delay_alu instid0(VALU_DEP_1) | instskip(SKIP_2) | instid1(VALU_DEP_1)
	v_cmp_lt_u32_e64 s10, v5, v3
	s_wait_dscnt 0x0
	v_add_f32_e32 v2, v1, v2
	v_cndmask_b32_e64 v1, v1, v2, s4
	ds_bpermute_b32 v2, v10, v1
	s_wait_dscnt 0x0
	v_add_f32_e32 v2, v1, v2
	s_delay_alu instid0(VALU_DEP_1) | instskip(SKIP_3) | instid1(VALU_DEP_1)
	v_cndmask_b32_e64 v1, v1, v2, s5
	ds_bpermute_b32 v2, v11, v1
	s_wait_dscnt 0x0
	v_add_f32_e32 v2, v1, v2
	v_cndmask_b32_e64 v1, v1, v2, s6
	ds_bpermute_b32 v2, v12, v1
	s_wait_dscnt 0x0
	v_add_f32_e32 v2, v1, v2
	s_delay_alu instid0(VALU_DEP_1) | instskip(SKIP_3) | instid1(VALU_DEP_1)
	v_cndmask_b32_e64 v1, v1, v2, s7
	ds_bpermute_b32 v2, v8, v1 offset:128
	s_wait_dscnt 0x0
	v_add_f32_e32 v2, v1, v2
	v_cndmask_b32_e64 v1, v1, v2, s10
	s_and_saveexec_b32 s9, s8
; %bb.6:
	v_lshrrev_b32_e32 v2, 4, v0
	s_delay_alu instid0(VALU_DEP_1)
	v_and_b32_e32 v2, 60, v2
	ds_store_b32 v2, v1 offset:128
; %bb.7:
	s_or_b32 exec_lo, exec_lo, s9
	v_cmp_gt_u32_e64 s9, 16, v0
	v_and_b32_e32 v5, 15, v4
	v_or_b32_e32 v6, 32, v8
	s_wait_dscnt 0x0
	s_barrier_signal -1
	s_barrier_wait -1
	s_and_saveexec_b32 s35, s9
	s_cbranch_execz .LBB1_9
; %bb.8:
	ds_load_b32 v1, v8 offset:128
	v_cmp_ne_u32_e32 vcc_lo, 15, v5
	s_add_co_i32 s11, s36, 63
	v_add_nc_u32_e32 v13, 1, v5
	s_lshr_b32 s37, s11, 6
	v_cmp_gt_u32_e64 s11, 12, v5
	v_add_co_ci_u32_e64 v2, null, 0, v4, vcc_lo
	v_cmp_gt_u32_e32 vcc_lo, 14, v5
	s_delay_alu instid0(VALU_DEP_3) | instskip(NEXT) | instid1(VALU_DEP_3)
	v_cndmask_b32_e64 v14, 0, 4, s11
	v_lshlrev_b32_e32 v2, 2, v2
	v_cndmask_b32_e64 v3, 0, 2, vcc_lo
	v_cmp_gt_u32_e32 vcc_lo, s37, v13
	v_add_nc_u32_e32 v13, 2, v5
	s_delay_alu instid0(VALU_DEP_3)
	v_add_lshl_u32 v3, v3, v4, 2
	s_wait_dscnt 0x0
	ds_bpermute_b32 v2, v2, v1
	v_cmp_gt_u32_e64 s11, s37, v13
	s_wait_dscnt 0x0
	v_dual_add_f32 v2, v1, v2 :: v_dual_add_nc_u32 v13, 4, v5
	s_delay_alu instid0(VALU_DEP_1) | instskip(SKIP_3) | instid1(VALU_DEP_1)
	v_cndmask_b32_e32 v2, v1, v2, vcc_lo
	ds_bpermute_b32 v3, v3, v2
	s_wait_dscnt 0x0
	v_add_f32_e32 v3, v2, v3
	v_cndmask_b32_e64 v2, v2, v3, s11
	v_add_lshl_u32 v3, v14, v4, 2
	v_cmp_gt_u32_e64 s11, s37, v13
	v_add_nc_u32_e32 v13, 8, v5
	ds_bpermute_b32 v3, v3, v2
	s_wait_dscnt 0x0
	v_add_f32_e32 v3, v2, v3
	s_delay_alu instid0(VALU_DEP_1) | instskip(SKIP_4) | instid1(VALU_DEP_1)
	v_cndmask_b32_e64 v2, v2, v3, s11
	v_cmp_gt_u32_e64 s11, s37, v13
	ds_bpermute_b32 v3, v6, v2
	s_wait_dscnt 0x0
	v_add_f32_e32 v3, v2, v3
	v_cndmask_b32_e64 v2, v2, v3, s11
	s_delay_alu instid0(VALU_DEP_1)
	v_cndmask_b32_e32 v1, v1, v2, vcc_lo
.LBB1_9:
	s_or_b32 exec_lo, exec_lo, s35
	v_cmp_eq_u32_e64 s11, 0, v0
	s_and_saveexec_b32 s35, s11
	s_cbranch_execz .LBB1_11
; %bb.10:
	s_cvt_f32_i32 s37, s23
	s_delay_alu instid0(SALU_CYCLE_3) | instskip(SKIP_1) | instid1(VALU_DEP_2)
	v_div_scale_f32 v2, null, s37, s37, v1
	v_div_scale_f32 v14, vcc_lo, v1, s37, v1
	v_rcp_f32_e32 v3, v2
	v_nop
	s_delay_alu instid0(TRANS32_DEP_1) | instskip(NEXT) | instid1(VALU_DEP_1)
	v_fma_f32 v13, -v2, v3, 1.0
	v_fmac_f32_e32 v3, v13, v3
	s_delay_alu instid0(VALU_DEP_1) | instskip(NEXT) | instid1(VALU_DEP_1)
	v_mul_f32_e32 v13, v14, v3
	v_fma_f32 v15, -v2, v13, v14
	s_delay_alu instid0(VALU_DEP_1) | instskip(NEXT) | instid1(VALU_DEP_1)
	v_fmac_f32_e32 v13, v15, v3
	v_fma_f32 v2, -v2, v13, v14
	s_delay_alu instid0(VALU_DEP_1) | instskip(NEXT) | instid1(VALU_DEP_1)
	v_div_fmas_f32 v2, v2, v3, v13
	v_div_fixup_f32 v1, v2, s37, v1
	s_delay_alu instid0(VALU_DEP_1) | instskip(NEXT) | instid1(VALU_DEP_1)
	v_add_f32_e32 v1, s22, v1
	v_mul_f32_e32 v2, 0x4b800000, v1
	v_cmp_gt_f32_e32 vcc_lo, 0x800000, v1
	s_delay_alu instid0(VALU_DEP_2) | instskip(NEXT) | instid1(VALU_DEP_1)
	v_cndmask_b32_e32 v1, v1, v2, vcc_lo
	v_rsq_f32_e32 v1, v1
	v_nop
	s_delay_alu instid0(TRANS32_DEP_1) | instskip(NEXT) | instid1(VALU_DEP_1)
	v_mul_f32_e32 v2, 0x45800000, v1
	v_dual_cndmask_b32 v1, v1, v2 :: v_dual_mov_b32 v2, 0
	ds_store_b32 v2, v1 offset:264
.LBB1_11:
	s_or_b32 exec_lo, exec_lo, s35
	v_mov_b32_e32 v13, 0
	s_wait_dscnt 0x0
	s_barrier_signal -1
	s_barrier_wait -1
	ds_load_b32 v1, v13 offset:264
	s_and_saveexec_b32 s37, s2
	s_cbranch_execz .LBB1_15
; %bb.12:
	s_cmp_lt_u32 s28, s34
	s_mov_b32 s35, 0
	s_cselect_b32 s34, 12, 18
	v_dual_mov_b32 v3, 0 :: v_dual_mov_b32 v13, 0
	s_add_nc_u64 s[38:39], s[24:25], s[34:35]
	v_mov_b32_e32 v2, v0
	s_load_u16 s34, s[38:39], 0x0
.LBB1_13:                               ; =>This Inner Loop Header: Depth=1
	s_delay_alu instid0(VALU_DEP_1) | instskip(NEXT) | instid1(VALU_DEP_1)
	v_add_nc_u64_e32 v[14:15], s[26:27], v[2:3]
	v_lshlrev_b64_e32 v[14:15], 2, v[14:15]
	s_delay_alu instid0(VALU_DEP_1)
	v_add_nc_u64_e32 v[16:17], s[16:17], v[14:15]
	v_add_nc_u64_e32 v[14:15], s[30:31], v[14:15]
	global_load_b32 v18, v[16:17], off
	global_load_b32 v19, v[14:15], off
	global_load_b32 v20, v2, s[18:19] scale_offset
	s_wait_kmcnt 0x0
	v_add_nc_u32_e32 v2, s34, v2
	s_delay_alu instid0(VALU_DEP_1) | instskip(SKIP_4) | instid1(VALU_DEP_1)
	v_cmp_le_u32_e32 vcc_lo, s23, v2
	s_or_b32 s35, vcc_lo, s35
	s_wait_loadcnt 0x1
	v_add_f32_e32 v14, v18, v19
	s_wait_dscnt 0x0
	v_mul_f32_e32 v14, v1, v14
	s_wait_loadcnt 0x0
	s_delay_alu instid0(VALU_DEP_1) | instskip(NEXT) | instid1(VALU_DEP_1)
	v_dual_max_num_f32 v13, v13, v13 :: v_dual_mul_f32 v14, v20, v14
	v_max_num_f32_e64 v13, v13, |v14|
	s_and_not1_b32 exec_lo, exec_lo, s35
	s_cbranch_execnz .LBB1_13
; %bb.14:
	s_or_b32 exec_lo, exec_lo, s35
.LBB1_15:
	s_delay_alu instid0(SALU_CYCLE_1)
	s_or_b32 exec_lo, exec_lo, s37
	ds_bpermute_b32 v3, v7, v13
	v_or_b32_e32 v2, 0x80, v8
	s_wait_dscnt 0x0
	v_cmp_lt_f32_e32 vcc_lo, v13, v3
	v_cndmask_b32_e32 v3, v13, v3, vcc_lo
	s_delay_alu instid0(VALU_DEP_1) | instskip(SKIP_1) | instid1(SALU_CYCLE_1)
	v_cndmask_b32_e64 v3, v13, v3, s3
	s_or_b32 s3, s3, s4
	s_or_b32 s3, s5, s3
	s_delay_alu instid0(SALU_CYCLE_1)
	s_or_b32 s3, s6, s3
	ds_bpermute_b32 v7, v9, v3
	s_or_b32 s3, s7, s3
	s_wait_dscnt 0x0
	v_cmp_lt_f32_e32 vcc_lo, v3, v7
	v_cndmask_b32_e32 v7, v3, v7, vcc_lo
	s_delay_alu instid0(VALU_DEP_1) | instskip(SKIP_4) | instid1(VALU_DEP_1)
	v_cndmask_b32_e64 v3, v3, v7, s4
	ds_bpermute_b32 v7, v10, v3
	s_wait_dscnt 0x0
	v_cmp_lt_f32_e32 vcc_lo, v3, v7
	v_cndmask_b32_e32 v7, v3, v7, vcc_lo
	v_cndmask_b32_e64 v3, v3, v7, s5
	ds_bpermute_b32 v7, v11, v3
	s_wait_dscnt 0x0
	v_cmp_lt_f32_e32 vcc_lo, v3, v7
	v_cndmask_b32_e32 v7, v3, v7, vcc_lo
	s_delay_alu instid0(VALU_DEP_1) | instskip(SKIP_4) | instid1(VALU_DEP_1)
	v_cndmask_b32_e64 v3, v3, v7, s6
	ds_bpermute_b32 v7, v12, v3
	s_wait_dscnt 0x0
	v_cmp_lt_f32_e32 vcc_lo, v3, v7
	v_cndmask_b32_e32 v7, v3, v7, vcc_lo
	v_cndmask_b32_e64 v3, v3, v7, s7
	ds_bpermute_b32 v2, v2, v3
	s_wait_dscnt 0x0
	v_cmp_lt_f32_e32 vcc_lo, v3, v2
	s_and_b32 vcc_lo, s10, vcc_lo
	v_cndmask_b32_e32 v2, v3, v2, vcc_lo
	s_or_b32 vcc_lo, s10, s3
	s_delay_alu instid0(VALU_DEP_1)
	v_cndmask_b32_e32 v2, v13, v2, vcc_lo
	s_and_saveexec_b32 s3, s8
; %bb.16:
	v_lshrrev_b32_e32 v3, 4, v0
	s_delay_alu instid0(VALU_DEP_1)
	v_and_b32_e32 v3, 60, v3
	ds_store_b32 v3, v2 offset:192
; %bb.17:
	s_or_b32 exec_lo, exec_lo, s3
	s_wait_dscnt 0x0
	s_barrier_signal -1
	s_barrier_wait -1
	s_and_saveexec_b32 s5, s9
	s_cbranch_execz .LBB1_19
; %bb.18:
	ds_load_b32 v2, v8 offset:192
	v_cmp_ne_u32_e32 vcc_lo, 15, v5
	s_add_co_i32 s3, s36, 63
	v_add_nc_u32_e32 v7, 1, v5
	s_lshr_b32 s4, s3, 6
	v_cmp_gt_u32_e64 s3, 12, v5
	v_add_co_ci_u32_e64 v3, null, 0, v4, vcc_lo
	v_cmp_gt_u32_e32 vcc_lo, 14, v5
	s_delay_alu instid0(VALU_DEP_3) | instskip(NEXT) | instid1(VALU_DEP_3)
	v_cndmask_b32_e64 v9, 0, 4, s3
	v_lshlrev_b32_e32 v3, 2, v3
	v_cndmask_b32_e64 v8, 0, 2, vcc_lo
	s_delay_alu instid0(VALU_DEP_1) | instskip(NEXT) | instid1(VALU_DEP_4)
	v_add_lshl_u32 v8, v8, v4, 2
	v_add_lshl_u32 v4, v9, v4, 2
	s_wait_dscnt 0x0
	ds_bpermute_b32 v3, v3, v2
	s_wait_dscnt 0x0
	v_cmp_lt_f32_e32 vcc_lo, v2, v3
	v_cndmask_b32_e32 v3, v2, v3, vcc_lo
	v_cmp_gt_u32_e32 vcc_lo, s4, v7
	s_delay_alu instid0(VALU_DEP_2) | instskip(SKIP_4) | instid1(VALU_DEP_1)
	v_cndmask_b32_e32 v3, v2, v3, vcc_lo
	ds_bpermute_b32 v7, v8, v3
	v_add_nc_u32_e32 v8, 2, v5
	s_wait_dscnt 0x0
	v_cmp_lt_f32_e64 s3, v3, v7
	v_cndmask_b32_e64 v7, v3, v7, s3
	s_delay_alu instid0(VALU_DEP_3) | instskip(NEXT) | instid1(VALU_DEP_1)
	v_cmp_gt_u32_e64 s3, s4, v8
	v_dual_cndmask_b32 v3, v3, v7, s3 :: v_dual_add_nc_u32 v7, 4, v5
	v_add_nc_u32_e32 v5, 8, v5
	ds_bpermute_b32 v4, v4, v3
	s_wait_dscnt 0x0
	v_cmp_lt_f32_e64 s3, v3, v4
	s_delay_alu instid0(VALU_DEP_1) | instskip(SKIP_1) | instid1(VALU_DEP_1)
	v_cndmask_b32_e64 v4, v3, v4, s3
	v_cmp_gt_u32_e64 s3, s4, v7
	v_cndmask_b32_e64 v3, v3, v4, s3
	v_cmp_gt_u32_e64 s3, s4, v5
	ds_bpermute_b32 v4, v6, v3
	s_wait_dscnt 0x0
	v_cmp_lt_f32_e64 s4, v3, v4
	s_and_b32 s3, s3, s4
	s_delay_alu instid0(SALU_CYCLE_1) | instskip(NEXT) | instid1(VALU_DEP_1)
	v_cndmask_b32_e64 v3, v3, v4, s3
	v_cndmask_b32_e32 v2, v2, v3, vcc_lo
.LBB1_19:
	s_or_b32 exec_lo, exec_lo, s5
	s_and_saveexec_b32 s3, s11
	s_cbranch_execz .LBB1_23
; %bb.20:
	s_cmp_eq_u64 s[20:21], 0
	s_cbranch_scc1 .LBB1_22
; %bb.21:
	s_load_b32 s4, s[20:21], 0x0
	v_max_num_f32_e32 v2, v2, v2
	s_wait_kmcnt 0x0
	v_max_num_f32_e64 v3, s4, s4
	s_delay_alu instid0(VALU_DEP_1)
	v_min_num_f32_e32 v2, v2, v3
.LBB1_22:
	s_delay_alu instid0(VALU_DEP_1)
	v_div_scale_f32 v3, null, 0x43600000, 0x43600000, v2
	v_div_scale_f32 v6, vcc_lo, v2, 0x43600000, v2
	s_lshl_b64 s[4:5], s[28:29], 2
	v_rcp_f32_e32 v4, v3
	s_add_nc_u64 s[4:5], s[14:15], s[4:5]
	v_nop
	s_delay_alu instid0(TRANS32_DEP_1) | instskip(NEXT) | instid1(VALU_DEP_1)
	v_fma_f32 v5, -v3, v4, 1.0
	v_fmac_f32_e32 v4, v5, v4
	s_delay_alu instid0(VALU_DEP_1) | instskip(NEXT) | instid1(VALU_DEP_1)
	v_mul_f32_e32 v5, v6, v4
	v_fma_f32 v7, -v3, v5, v6
	s_delay_alu instid0(VALU_DEP_1) | instskip(NEXT) | instid1(VALU_DEP_1)
	v_fmac_f32_e32 v5, v7, v4
	v_fma_f32 v3, -v3, v5, v6
	s_delay_alu instid0(VALU_DEP_1) | instskip(NEXT) | instid1(VALU_DEP_1)
	v_div_fmas_f32 v3, v3, v4, v5
	v_div_fixup_f32 v2, v3, 0x43600000, v2
	s_delay_alu instid0(VALU_DEP_1)
	v_dual_mov_b32 v3, 0 :: v_dual_max_num_f32 v2, 0x37124925, v2
	ds_store_b32 v3, v2 offset:268
	global_store_b32 v3, v2, s[4:5]
.LBB1_23:
	s_wait_xcnt 0x0
	s_or_b32 exec_lo, exec_lo, s3
	s_wait_storecnt_dscnt 0x0
	s_barrier_signal -1
	s_barrier_wait -1
	s_and_saveexec_b32 s3, s2
	s_cbranch_execz .LBB1_34
; %bb.24:
	v_dual_mov_b32 v3, 0 :: v_dual_mov_b32 v2, v0
	s_mov_b32 s2, 0
	s_mov_b32 s4, 0x43600000
	ds_load_b32 v6, v3 offset:268
	s_branch .LBB1_27
.LBB1_25:                               ;   in Loop: Header=BB1_27 Depth=1
	s_or_b32 exec_lo, exec_lo, s7
.LBB1_26:                               ;   in Loop: Header=BB1_27 Depth=1
	s_delay_alu instid0(SALU_CYCLE_1) | instskip(SKIP_2) | instid1(VALU_DEP_2)
	s_or_b32 exec_lo, exec_lo, s5
	v_add_nc_u32_e32 v2, s36, v2
	v_add_nc_u64_e32 v[4:5], s[12:13], v[4:5]
	v_cmp_le_u32_e32 vcc_lo, s23, v2
	global_store_b8 v[4:5], v9, off
	s_or_b32 s2, vcc_lo, s2
	s_wait_xcnt 0x0
	s_and_not1_b32 exec_lo, exec_lo, s2
	s_cbranch_execz .LBB1_34
.LBB1_27:                               ; =>This Inner Loop Header: Depth=1
	v_add_nc_u64_e32 v[4:5], s[26:27], v[2:3]
	s_mov_b32 s5, exec_lo
	s_delay_alu instid0(VALU_DEP_1) | instskip(NEXT) | instid1(VALU_DEP_1)
	v_lshlrev_b64_e32 v[8:9], 2, v[4:5]
	v_add_nc_u64_e32 v[10:11], s[16:17], v[8:9]
	v_add_nc_u64_e32 v[12:13], s[30:31], v[8:9]
	global_load_b32 v7, v[10:11], off
	global_load_b32 v8, v[12:13], off
	global_load_b32 v9, v2, s[18:19] scale_offset
	s_wait_loadcnt 0x1
	s_wait_xcnt 0x2
	v_add_f32_e32 v10, v7, v8
	s_delay_alu instid0(VALU_DEP_1) | instskip(SKIP_1) | instid1(VALU_DEP_1)
	v_mul_f32_e32 v7, v1, v10
	s_wait_loadcnt 0x0
	v_mul_f32_e32 v7, v7, v9
	global_store_b32 v[12:13], v10, off
	s_wait_dscnt 0x0
	v_div_scale_f32 v8, null, v6, v6, v7
	v_div_scale_f32 v14, vcc_lo, v7, v6, v7
	s_delay_alu instid0(VALU_DEP_2) | instskip(SKIP_1) | instid1(TRANS32_DEP_1)
	v_rcp_f32_e32 v9, v8
	v_nop
	v_fma_f32 v11, -v8, v9, 1.0
	s_delay_alu instid0(VALU_DEP_1) | instskip(NEXT) | instid1(VALU_DEP_1)
	v_fmac_f32_e32 v9, v11, v9
	v_mul_f32_e32 v11, v14, v9
	s_delay_alu instid0(VALU_DEP_1) | instskip(NEXT) | instid1(VALU_DEP_1)
	v_fma_f32 v15, -v8, v11, v14
	v_fmac_f32_e32 v11, v15, v9
	s_delay_alu instid0(VALU_DEP_1) | instskip(NEXT) | instid1(VALU_DEP_1)
	v_fma_f32 v8, -v8, v11, v14
	v_div_fmas_f32 v8, v8, v9, v11
	v_mov_b32_e32 v9, 0x80
	s_delay_alu instid0(VALU_DEP_2) | instskip(NEXT) | instid1(VALU_DEP_1)
	v_div_fixup_f32 v7, v8, v6, v7
	v_minmax_num_f32 v7, v7, s4, 0xc3600000
	s_delay_alu instid0(VALU_DEP_1) | instskip(SKIP_1) | instid1(VALU_DEP_1)
	v_and_b32_e32 v8, 0x7fffffff, v7
	s_wait_xcnt 0x0
	v_cmpx_gt_u32_e32 0x43800000, v8
	s_cbranch_execz .LBB1_26
; %bb.28:                               ;   in Loop: Header=BB1_27 Depth=1
	v_cmp_lt_u32_e32 vcc_lo, 0x3bffffff, v8
	s_mov_b32 s6, 0
                                        ; implicit-def: $vgpr8
	s_and_saveexec_b32 s7, vcc_lo
	s_delay_alu instid0(SALU_CYCLE_1)
	s_xor_b32 s7, exec_lo, s7
	s_cbranch_execnz .LBB1_31
; %bb.29:                               ;   in Loop: Header=BB1_27 Depth=1
	s_and_not1_saveexec_b32 s7, s7
	s_cbranch_execnz .LBB1_32
.LBB1_30:                               ;   in Loop: Header=BB1_27 Depth=1
	s_or_b32 exec_lo, exec_lo, s7
	v_mov_b32_e32 v9, 0
	s_and_saveexec_b32 s7, s6
	s_cbranch_execz .LBB1_25
	s_branch .LBB1_33
.LBB1_31:                               ;   in Loop: Header=BB1_27 Depth=1
	v_bfe_u32 v8, v7, 20, 1
	s_mov_b32 s6, exec_lo
	s_delay_alu instid0(VALU_DEP_1) | instskip(NEXT) | instid1(VALU_DEP_1)
	v_add3_u32 v8, v7, v8, 0x487ffff
	v_lshrrev_b32_e32 v8, 20, v8
	s_and_not1_saveexec_b32 s7, s7
	s_cbranch_execz .LBB1_30
.LBB1_32:                               ;   in Loop: Header=BB1_27 Depth=1
	v_add_f32_e64 v8, 0x46000000, |v7|
	s_and_not1_b32 s6, s6, exec_lo
	s_delay_alu instid0(VALU_DEP_1) | instskip(NEXT) | instid1(VALU_DEP_1)
	v_and_b32_e32 v8, 0xff, v8
	v_cmp_ne_u32_e32 vcc_lo, 0, v8
	s_and_b32 s8, vcc_lo, exec_lo
	s_delay_alu instid0(SALU_CYCLE_1)
	s_or_b32 s6, s6, s8
	s_or_b32 exec_lo, exec_lo, s7
	v_mov_b32_e32 v9, 0
	s_and_saveexec_b32 s7, s6
	s_cbranch_execz .LBB1_25
.LBB1_33:                               ;   in Loop: Header=BB1_27 Depth=1
	v_lshrrev_b32_e32 v7, 24, v7
	s_delay_alu instid0(VALU_DEP_1)
	v_and_or_b32 v9, 0x80, v7, v8
	s_branch .LBB1_25
.LBB1_34:
	s_or_b32 exec_lo, exec_lo, s3
	s_branch .LBB1_207
.LBB1_35:
	s_cbranch_execz .LBB1_207
; %bb.36:
	s_load_b32 s1, s[0:1], 0x38
	s_bfe_u32 s2, ttmp6, 0x4000c
	s_wait_xcnt 0x0
	s_and_b32 s0, ttmp6, 15
	s_add_co_i32 s2, s2, 1
	s_mov_b32 s29, 0
	s_mul_i32 s2, ttmp9, s2
	v_mov_b32_e32 v2, 0
	s_add_co_i32 s0, s0, s2
	s_cmp_eq_u32 s33, 0
	s_mov_b32 s2, s23
	s_cselect_b32 s28, ttmp9, s0
	s_ashr_i32 s3, s23, 31
	s_ashr_i32 s33, s23, 2
	s_mul_u64 s[26:27], s[2:3], s[28:29]
	v_cmp_gt_u32_e64 s0, s33, v0
	s_lshl_b64 s[2:3], s[26:27], 2
	s_delay_alu instid0(SALU_CYCLE_1)
	s_add_nc_u64 s[10:11], s[16:17], s[2:3]
	s_add_nc_u64 s[16:17], s[30:31], s[2:3]
	s_and_saveexec_b32 s2, s0
	s_cbranch_execz .LBB1_46
; %bb.37:
	s_wait_kmcnt 0x0
	s_cmp_lt_u32 s28, s1
	s_mov_b32 s5, s29
	s_cselect_b32 s4, 12, 18
	v_dual_mov_b32 v2, 0 :: v_dual_mov_b32 v1, v0
	s_add_nc_u64 s[4:5], s[24:25], s[4:5]
	s_mov_b32 s6, s29
	s_load_u16 s3, s[4:5], 0x0
                                        ; implicit-def: $sgpr8
	s_wait_kmcnt 0x0
	s_lshl_b32 s4, s3, 1
	s_mul_i32 s5, s3, 3
	s_add_co_i32 s7, s3, s3
	s_branch .LBB1_41
.LBB1_38:                               ;   in Loop: Header=BB1_41 Depth=1
	s_or_b32 exec_lo, exec_lo, s31
	s_delay_alu instid0(SALU_CYCLE_1)
	s_or_not1_b32 s31, s34, exec_lo
.LBB1_39:                               ;   in Loop: Header=BB1_41 Depth=1
	s_or_b32 exec_lo, exec_lo, s30
	s_delay_alu instid0(SALU_CYCLE_1) | instskip(SKIP_1) | instid1(SALU_CYCLE_1)
	s_and_not1_b32 s8, s8, exec_lo
	s_and_b32 s30, s31, exec_lo
	s_or_b32 s8, s8, s30
.LBB1_40:                               ;   in Loop: Header=BB1_41 Depth=1
	s_or_b32 exec_lo, exec_lo, s9
	s_delay_alu instid0(SALU_CYCLE_1) | instskip(NEXT) | instid1(SALU_CYCLE_1)
	s_and_b32 s9, exec_lo, s8
	s_or_b32 s6, s9, s6
	s_delay_alu instid0(SALU_CYCLE_1)
	s_and_not1_b32 exec_lo, exec_lo, s6
	s_cbranch_execz .LBB1_45
.LBB1_41:                               ; =>This Inner Loop Header: Depth=1
	s_clause 0x1
	global_load_b128 v[4:7], v1, s[10:11] scale_offset
	global_load_b128 v[8:11], v1, s[16:17] scale_offset
	s_or_b32 s8, s8, exec_lo
	s_mov_b32 s9, exec_lo
	v_add_nc_u32_e32 v3, s3, v1
	s_wait_loadcnt 0x0
	v_pk_add_f32 v[4:5], v[4:5], v[8:9]
	v_pk_add_f32 v[6:7], v[6:7], v[10:11]
	s_delay_alu instid0(VALU_DEP_2) | instskip(NEXT) | instid1(VALU_DEP_2)
	v_pk_mul_f32 v[4:5], v[4:5], v[4:5]
	v_pk_mul_f32 v[6:7], v[6:7], v[6:7]
	s_delay_alu instid0(VALU_DEP_2) | instskip(NEXT) | instid1(VALU_DEP_1)
	v_add_f32_e32 v2, v2, v4
	v_add_f32_e32 v2, v2, v5
	s_delay_alu instid0(VALU_DEP_1) | instskip(NEXT) | instid1(VALU_DEP_1)
	v_add_f32_e32 v2, v2, v6
	v_add_f32_e32 v2, v2, v7
	s_wait_xcnt 0x0
	v_cmpx_gt_u32_e64 s33, v3
	s_cbranch_execz .LBB1_40
; %bb.42:                               ;   in Loop: Header=BB1_41 Depth=1
	s_clause 0x1
	global_load_b128 v[4:7], v3, s[10:11] scale_offset
	global_load_b128 v[8:11], v3, s[16:17] scale_offset
	s_mov_b32 s31, -1
	s_mov_b32 s30, exec_lo
	s_wait_loadcnt 0x0
	v_pk_add_f32 v[4:5], v[4:5], v[8:9]
	v_pk_add_f32 v[6:7], v[6:7], v[10:11]
	s_delay_alu instid0(VALU_DEP_2) | instskip(NEXT) | instid1(VALU_DEP_2)
	v_pk_mul_f32 v[4:5], v[4:5], v[4:5]
	v_pk_mul_f32 v[6:7], v[6:7], v[6:7]
	s_delay_alu instid0(VALU_DEP_2) | instskip(NEXT) | instid1(VALU_DEP_1)
	v_dual_add_f32 v2, v2, v4 :: v_dual_add_nc_u32 v4, s4, v1
	v_add_f32_e32 v2, v2, v5
	s_delay_alu instid0(VALU_DEP_1) | instskip(NEXT) | instid1(VALU_DEP_1)
	v_add_f32_e32 v2, v2, v6
	v_add_f32_e32 v2, v2, v7
	s_wait_xcnt 0x0
	v_cmpx_gt_u32_e64 s33, v4
	s_cbranch_execz .LBB1_39
; %bb.43:                               ;   in Loop: Header=BB1_41 Depth=1
	s_clause 0x1
	global_load_b128 v[6:9], v4, s[10:11] scale_offset
	global_load_b128 v[10:13], v4, s[16:17] scale_offset
	s_mov_b32 s34, -1
	s_mov_b32 s31, exec_lo
	s_wait_loadcnt 0x0
	v_pk_add_f32 v[4:5], v[6:7], v[10:11]
	v_pk_add_f32 v[6:7], v[8:9], v[12:13]
	s_delay_alu instid0(VALU_DEP_2) | instskip(NEXT) | instid1(VALU_DEP_2)
	v_pk_mul_f32 v[4:5], v[4:5], v[4:5]
	v_pk_mul_f32 v[6:7], v[6:7], v[6:7]
	s_delay_alu instid0(VALU_DEP_2) | instskip(NEXT) | instid1(VALU_DEP_1)
	v_dual_add_f32 v2, v2, v4 :: v_dual_add_nc_u32 v4, s5, v1
                                        ; implicit-def: $vgpr1
	v_add_f32_e32 v2, v2, v5
	s_delay_alu instid0(VALU_DEP_1) | instskip(NEXT) | instid1(VALU_DEP_1)
	v_add_f32_e32 v2, v2, v6
	v_add_f32_e32 v2, v2, v7
	s_delay_alu instid0(VALU_DEP_4)
	v_cmpx_gt_u32_e64 s33, v4
	s_xor_b32 s31, exec_lo, s31
	s_cbranch_execz .LBB1_38
; %bb.44:                               ;   in Loop: Header=BB1_41 Depth=1
	s_clause 0x1
	global_load_b128 v[6:9], v4, s[10:11] scale_offset
	global_load_b128 v[10:13], v4, s[16:17] scale_offset
	s_wait_loadcnt 0x0
	v_pk_add_f32 v[4:5], v[6:7], v[10:11]
	v_pk_add_f32 v[6:7], v[8:9], v[12:13]
	s_delay_alu instid0(VALU_DEP_2) | instskip(NEXT) | instid1(VALU_DEP_1)
	v_pk_mul_f32 v[4:5], v[4:5], v[4:5]
	v_add_f32_e32 v1, v2, v4
	s_delay_alu instid0(VALU_DEP_1) | instskip(NEXT) | instid1(VALU_DEP_4)
	v_add_f32_e32 v2, v1, v5
	v_pk_mul_f32 v[4:5], v[6:7], v[6:7]
	v_add3_u32 v1, s7, s3, v3
	s_delay_alu instid0(VALU_DEP_2) | instskip(NEXT) | instid1(VALU_DEP_2)
	v_add_f32_e32 v2, v2, v4
	v_cmp_le_u32_e32 vcc_lo, s33, v1
	s_delay_alu instid0(VALU_DEP_2)
	v_add_f32_e32 v2, v2, v5
	s_or_not1_b32 s34, vcc_lo, exec_lo
	s_branch .LBB1_38
.LBB1_45:
	s_or_b32 exec_lo, exec_lo, s6
.LBB1_46:
	s_delay_alu instid0(SALU_CYCLE_1)
	s_or_b32 exec_lo, exec_lo, s2
	v_mbcnt_lo_u32_b32 v1, -1, 0
	s_wait_kmcnt 0x0
	s_cmp_lt_u32 s28, s1
	s_mov_b32 s3, 0
	s_cselect_b32 s2, 12, 18
	v_and_b32_e32 v5, 0x3c0, v0
	v_cmp_ne_u32_e32 vcc_lo, 63, v1
	s_add_nc_u64 s[2:3], s[24:25], s[2:3]
	v_cmp_eq_u32_e64 s6, 0, v1
	s_load_u16 s24, s[2:3], 0x0
	v_add_nc_u32_e32 v6, 1, v1
	v_add_co_ci_u32_e64 v3, null, 0, v1, vcc_lo
	v_cmp_gt_u32_e32 vcc_lo, 62, v1
	s_delay_alu instid0(VALU_DEP_2)
	v_lshlrev_b32_e32 v3, 2, v3
	v_cndmask_b32_e64 v7, 0, 2, vcc_lo
	v_cmp_gt_u32_e32 vcc_lo, 60, v1
	ds_bpermute_b32 v4, v3, v2
	s_wait_kmcnt 0x0
	v_sub_nc_u32_e64 v8, s24, v5 clamp
	s_delay_alu instid0(VALU_DEP_1)
	v_cmp_lt_u32_e64 s1, v6, v8
	v_cndmask_b32_e64 v6, 0, 4, vcc_lo
	v_cmp_gt_u32_e32 vcc_lo, 56, v1
	s_wait_dscnt 0x0
	v_add_f32_e32 v5, v2, v4
	v_add_lshl_u32 v4, v7, v1, 2
	v_add_nc_u32_e32 v7, 2, v1
	s_delay_alu instid0(VALU_DEP_3) | instskip(NEXT) | instid1(VALU_DEP_2)
	v_cndmask_b32_e64 v2, v2, v5, s1
	v_cmp_lt_u32_e64 s2, v7, v8
	v_cndmask_b32_e64 v7, 0, 8, vcc_lo
	v_cmp_gt_u32_e32 vcc_lo, 48, v1
	ds_bpermute_b32 v5, v4, v2
	s_wait_dscnt 0x0
	v_add_f32_e32 v9, v2, v5
	v_add_lshl_u32 v5, v6, v1, 2
	s_delay_alu instid0(VALU_DEP_2) | instskip(SKIP_4) | instid1(VALU_DEP_2)
	v_cndmask_b32_e64 v2, v2, v9, s2
	ds_bpermute_b32 v6, v5, v2
	s_wait_dscnt 0x0
	v_dual_add_f32 v10, v2, v6 :: v_dual_add_nc_u32 v9, 4, v1
	v_add_lshl_u32 v6, v7, v1, 2
	v_cmp_lt_u32_e64 s3, v9, v8
	v_cndmask_b32_e64 v9, 0, 16, vcc_lo
	s_delay_alu instid0(VALU_DEP_2) | instskip(SKIP_3) | instid1(VALU_DEP_1)
	v_cndmask_b32_e64 v2, v2, v10, s3
	ds_bpermute_b32 v7, v6, v2
	s_wait_dscnt 0x0
	v_dual_add_f32 v11, v2, v7 :: v_dual_add_nc_u32 v10, 8, v1
	v_cmp_lt_u32_e64 s4, v10, v8
	v_add_lshl_u32 v7, v9, v1, 2
	s_delay_alu instid0(VALU_DEP_2) | instskip(NEXT) | instid1(VALU_DEP_1)
	v_dual_add_nc_u32 v10, 16, v1 :: v_dual_cndmask_b32 v9, v2, v11, s4
	v_cmp_lt_u32_e64 s5, v10, v8
	ds_bpermute_b32 v2, v7, v9
	s_wait_dscnt 0x0
	v_dual_add_f32 v11, v9, v2 :: v_dual_lshlrev_b32 v2, 2, v1
	s_delay_alu instid0(VALU_DEP_1) | instskip(SKIP_3) | instid1(VALU_DEP_1)
	v_cndmask_b32_e64 v9, v9, v11, s5
	ds_bpermute_b32 v10, v2, v9 offset:128
	s_wait_dscnt 0x0
	v_dual_add_f32 v10, v9, v10 :: v_dual_bitop2_b32 v11, 32, v1 bitop3:0x54
	v_cmp_lt_u32_e64 s8, v11, v8
	s_delay_alu instid0(VALU_DEP_1)
	v_cndmask_b32_e64 v8, v9, v10, s8
	s_and_saveexec_b32 s7, s6
; %bb.47:
	v_lshrrev_b32_e32 v9, 4, v0
	s_delay_alu instid0(VALU_DEP_1)
	v_and_b32_e32 v9, 60, v9
	ds_store_b32 v9, v8
; %bb.48:
	s_or_b32 exec_lo, exec_lo, s7
	v_cmp_gt_u32_e64 s7, 16, v0
	s_wait_storecnt_dscnt 0x0
	s_barrier_signal -1
	s_barrier_wait -1
	s_and_saveexec_b32 s25, s7
	s_cbranch_execz .LBB1_50
; %bb.49:
	ds_load_b32 v8, v2
	v_and_b32_e32 v9, 15, v1
	s_add_co_i32 s9, s24, 63
	s_delay_alu instid0(SALU_CYCLE_1) | instskip(NEXT) | instid1(VALU_DEP_1)
	s_lshr_b32 s30, s9, 6
	v_cmp_ne_u32_e32 vcc_lo, 15, v9
	v_add_co_ci_u32_e64 v10, null, 0, v1, vcc_lo
	s_delay_alu instid0(VALU_DEP_1)
	v_lshlrev_b32_e32 v10, 2, v10
	v_cmp_gt_u32_e32 vcc_lo, 14, v9
	v_cmp_gt_u32_e64 s9, 12, v9
	v_add_nc_u32_e32 v13, 2, v9
	s_wait_dscnt 0x0
	ds_bpermute_b32 v10, v10, v8
	v_add_nc_u32_e32 v12, 1, v9
	v_cndmask_b32_e64 v11, 0, 2, vcc_lo
	s_delay_alu instid0(VALU_DEP_1)
	v_add_lshl_u32 v11, v11, v1, 2
	s_wait_dscnt 0x0
	v_add_f32_e32 v10, v8, v10
	v_cmp_gt_u32_e32 vcc_lo, s30, v12
	v_cndmask_b32_e64 v12, 0, 4, s9
	v_cmp_gt_u32_e64 s9, s30, v13
	s_delay_alu instid0(VALU_DEP_4) | instskip(NEXT) | instid1(VALU_DEP_3)
	v_cndmask_b32_e32 v10, v8, v10, vcc_lo
	v_add_lshl_u32 v12, v12, v1, 2
	ds_bpermute_b32 v11, v11, v10
	s_wait_dscnt 0x0
	v_add_f32_e32 v11, v10, v11
	s_delay_alu instid0(VALU_DEP_1) | instskip(SKIP_2) | instid1(VALU_DEP_1)
	v_cndmask_b32_e64 v10, v10, v11, s9
	ds_bpermute_b32 v11, v12, v10
	v_dual_add_nc_u32 v12, 4, v9 :: v_dual_add_nc_u32 v9, 8, v9
	v_cmp_gt_u32_e64 s9, s30, v12
	s_wait_dscnt 0x0
	v_add_f32_e32 v11, v10, v11
	s_delay_alu instid0(VALU_DEP_1) | instskip(SKIP_4) | instid1(VALU_DEP_1)
	v_dual_cndmask_b32 v10, v10, v11, s9 :: v_dual_bitop2_b32 v11, 32, v2 bitop3:0x54
	v_cmp_gt_u32_e64 s9, s30, v9
	ds_bpermute_b32 v11, v11, v10
	s_wait_dscnt 0x0
	v_add_f32_e32 v11, v10, v11
	v_cndmask_b32_e64 v9, v10, v11, s9
	s_delay_alu instid0(VALU_DEP_1)
	v_cndmask_b32_e32 v8, v8, v9, vcc_lo
.LBB1_50:
	s_or_b32 exec_lo, exec_lo, s25
	v_cmp_eq_u32_e64 s9, 0, v0
	s_and_saveexec_b32 s25, s9
	s_cbranch_execz .LBB1_52
; %bb.51:
	s_cvt_f32_i32 s23, s23
	s_delay_alu instid0(SALU_CYCLE_3) | instskip(SKIP_1) | instid1(VALU_DEP_2)
	v_div_scale_f32 v9, null, s23, s23, v8
	v_div_scale_f32 v12, vcc_lo, v8, s23, v8
	v_rcp_f32_e32 v10, v9
	v_nop
	s_delay_alu instid0(TRANS32_DEP_1) | instskip(NEXT) | instid1(VALU_DEP_1)
	v_fma_f32 v11, -v9, v10, 1.0
	v_fmac_f32_e32 v10, v11, v10
	s_delay_alu instid0(VALU_DEP_1) | instskip(NEXT) | instid1(VALU_DEP_1)
	v_mul_f32_e32 v11, v12, v10
	v_fma_f32 v13, -v9, v11, v12
	s_delay_alu instid0(VALU_DEP_1) | instskip(NEXT) | instid1(VALU_DEP_1)
	v_fmac_f32_e32 v11, v13, v10
	v_fma_f32 v9, -v9, v11, v12
	s_delay_alu instid0(VALU_DEP_1) | instskip(NEXT) | instid1(VALU_DEP_1)
	v_div_fmas_f32 v9, v9, v10, v11
	v_div_fixup_f32 v8, v9, s23, v8
	s_delay_alu instid0(VALU_DEP_1) | instskip(NEXT) | instid1(VALU_DEP_1)
	v_add_f32_e32 v8, s22, v8
	v_mul_f32_e32 v9, 0x4b800000, v8
	v_cmp_gt_f32_e32 vcc_lo, 0x800000, v8
	s_delay_alu instid0(VALU_DEP_2) | instskip(NEXT) | instid1(VALU_DEP_1)
	v_cndmask_b32_e32 v8, v8, v9, vcc_lo
	v_rsq_f32_e32 v8, v8
	v_nop
	s_delay_alu instid0(TRANS32_DEP_1) | instskip(NEXT) | instid1(VALU_DEP_1)
	v_mul_f32_e32 v9, 0x45800000, v8
	v_dual_cndmask_b32 v8, v8, v9 :: v_dual_mov_b32 v9, 0
	ds_store_b32 v9, v8 offset:256
.LBB1_52:
	s_or_b32 exec_lo, exec_lo, s25
	v_mov_b32_e32 v8, 0
	s_wait_dscnt 0x0
	s_barrier_signal -1
	s_barrier_wait -1
	ds_load_b32 v14, v8 offset:256
	s_and_saveexec_b32 s22, s0
	s_cbranch_execz .LBB1_62
; %bb.53:
	v_dual_mov_b32 v8, 0 :: v_dual_mov_b32 v9, v0
	s_lshl_b32 s23, s24, 1
	s_mul_i32 s30, s24, 3
	s_mov_b32 s25, 0
	s_add_co_i32 s31, s24, s24
                                        ; implicit-def: $sgpr34
	s_branch .LBB1_57
.LBB1_54:                               ;   in Loop: Header=BB1_57 Depth=1
	s_or_b32 exec_lo, exec_lo, s37
	s_delay_alu instid0(SALU_CYCLE_1)
	s_or_not1_b32 s37, s38, exec_lo
.LBB1_55:                               ;   in Loop: Header=BB1_57 Depth=1
	s_or_b32 exec_lo, exec_lo, s36
	s_delay_alu instid0(SALU_CYCLE_1) | instskip(SKIP_1) | instid1(SALU_CYCLE_1)
	s_and_not1_b32 s34, s34, exec_lo
	s_and_b32 s36, s37, exec_lo
	s_or_b32 s34, s34, s36
.LBB1_56:                               ;   in Loop: Header=BB1_57 Depth=1
	s_or_b32 exec_lo, exec_lo, s35
	s_delay_alu instid0(SALU_CYCLE_1) | instskip(NEXT) | instid1(SALU_CYCLE_1)
	s_and_b32 s35, exec_lo, s34
	s_or_b32 s25, s35, s25
	s_delay_alu instid0(SALU_CYCLE_1)
	s_and_not1_b32 exec_lo, exec_lo, s25
	s_cbranch_execz .LBB1_61
.LBB1_57:                               ; =>This Inner Loop Header: Depth=1
	s_clause 0x2
	global_load_b128 v[10:13], v9, s[10:11] scale_offset
	global_load_b128 v[16:19], v9, s[16:17] scale_offset
	;; [unrolled: 1-line block ×3, first 2 shown]
	s_or_b32 s34, s34, exec_lo
	s_mov_b32 s35, exec_lo
	s_wait_loadcnt 0x1
	v_dual_add_f32 v10, v10, v16 :: v_dual_add_f32 v11, v11, v17
	v_dual_add_f32 v12, v12, v18 :: v_dual_add_f32 v13, v13, v19
	s_wait_dscnt 0x0
	s_delay_alu instid0(VALU_DEP_2) | instskip(NEXT) | instid1(VALU_DEP_2)
	v_dual_mul_f32 v10, v14, v10 :: v_dual_mul_f32 v11, v14, v11
	v_dual_mul_f32 v12, v14, v12 :: v_dual_mul_f32 v13, v14, v13
	s_wait_loadcnt 0x0
	s_delay_alu instid0(VALU_DEP_2) | instskip(NEXT) | instid1(VALU_DEP_2)
	v_dual_mul_f32 v10, v20, v10 :: v_dual_mul_f32 v11, v21, v11
	v_dual_mul_f32 v12, v22, v12 :: v_dual_mul_f32 v13, v23, v13
	s_delay_alu instid0(VALU_DEP_2) | instskip(SKIP_1) | instid1(VALU_DEP_2)
	v_max3_num_f32 v8, v8, |v10|, |v11|
	v_add_nc_u32_e32 v10, s24, v9
	v_max3_num_f32 v8, v8, |v12|, |v13|
	s_delay_alu instid0(VALU_DEP_2)
	v_cmpx_gt_u32_e64 s33, v10
	s_cbranch_execz .LBB1_56
; %bb.58:                               ;   in Loop: Header=BB1_57 Depth=1
	s_clause 0x2
	global_load_b128 v[16:19], v10, s[10:11] scale_offset
	global_load_b128 v[20:23], v10, s[16:17] scale_offset
	;; [unrolled: 1-line block ×3, first 2 shown]
	s_mov_b32 s37, -1
	s_mov_b32 s36, exec_lo
	s_wait_loadcnt 0x1
	v_dual_add_f32 v11, v16, v20 :: v_dual_add_f32 v12, v17, v21
	v_dual_add_f32 v13, v18, v22 :: v_dual_add_f32 v15, v19, v23
	s_delay_alu instid0(VALU_DEP_2) | instskip(NEXT) | instid1(VALU_DEP_2)
	v_dual_mul_f32 v11, v14, v11 :: v_dual_mul_f32 v12, v14, v12
	v_dual_mul_f32 v13, v14, v13 :: v_dual_mul_f32 v15, v14, v15
	s_wait_loadcnt 0x0
	s_delay_alu instid0(VALU_DEP_2) | instskip(NEXT) | instid1(VALU_DEP_2)
	v_dual_mul_f32 v11, v24, v11 :: v_dual_mul_f32 v12, v25, v12
	v_dual_mul_f32 v13, v26, v13 :: v_dual_mul_f32 v15, v27, v15
	s_delay_alu instid0(VALU_DEP_2) | instskip(SKIP_1) | instid1(VALU_DEP_2)
	v_max3_num_f32 v8, v8, |v11|, |v12|
	v_add_nc_u32_e32 v11, s23, v9
	v_max3_num_f32 v8, v8, |v13|, |v15|
	s_delay_alu instid0(VALU_DEP_2)
	v_cmpx_gt_u32_e64 s33, v11
	s_cbranch_execz .LBB1_55
; %bb.59:                               ;   in Loop: Header=BB1_57 Depth=1
	s_clause 0x2
	global_load_b128 v[16:19], v11, s[10:11] scale_offset
	global_load_b128 v[20:23], v11, s[16:17] scale_offset
	;; [unrolled: 1-line block ×3, first 2 shown]
	s_mov_b32 s38, -1
	s_mov_b32 s37, exec_lo
	s_wait_loadcnt 0x1
	s_wait_xcnt 0x0
	v_dual_add_f32 v11, v16, v20 :: v_dual_add_f32 v12, v17, v21
	v_dual_add_f32 v13, v18, v22 :: v_dual_add_f32 v15, v19, v23
	s_delay_alu instid0(VALU_DEP_2) | instskip(NEXT) | instid1(VALU_DEP_2)
	v_dual_mul_f32 v11, v14, v11 :: v_dual_mul_f32 v12, v14, v12
	v_dual_mul_f32 v13, v14, v13 :: v_dual_mul_f32 v15, v14, v15
	s_wait_loadcnt 0x0
	s_delay_alu instid0(VALU_DEP_2) | instskip(NEXT) | instid1(VALU_DEP_2)
	v_dual_mul_f32 v11, v24, v11 :: v_dual_mul_f32 v12, v25, v12
	v_dual_mul_f32 v13, v26, v13 :: v_dual_mul_f32 v15, v27, v15
	s_delay_alu instid0(VALU_DEP_2) | instskip(SKIP_1) | instid1(VALU_DEP_2)
	v_max3_num_f32 v8, v8, |v11|, |v12|
	v_add_nc_u32_e32 v11, s30, v9
                                        ; implicit-def: $vgpr9
	v_max3_num_f32 v8, v8, |v13|, |v15|
	s_delay_alu instid0(VALU_DEP_2)
	v_cmpx_gt_u32_e64 s33, v11
	s_xor_b32 s37, exec_lo, s37
	s_cbranch_execz .LBB1_54
; %bb.60:                               ;   in Loop: Header=BB1_57 Depth=1
	s_clause 0x2
	global_load_b128 v[16:19], v11, s[10:11] scale_offset
	global_load_b128 v[20:23], v11, s[16:17] scale_offset
	;; [unrolled: 1-line block ×3, first 2 shown]
	s_wait_loadcnt 0x1
	s_wait_xcnt 0x0
	v_dual_add_f32 v9, v16, v20 :: v_dual_add_f32 v11, v17, v21
	v_dual_add_f32 v12, v18, v22 :: v_dual_add_f32 v13, v19, v23
	s_delay_alu instid0(VALU_DEP_2) | instskip(NEXT) | instid1(VALU_DEP_2)
	v_dual_mul_f32 v9, v14, v9 :: v_dual_mul_f32 v11, v14, v11
	v_dual_mul_f32 v12, v14, v12 :: v_dual_mul_f32 v13, v14, v13
	s_wait_loadcnt 0x0
	s_delay_alu instid0(VALU_DEP_2) | instskip(SKIP_1) | instid1(VALU_DEP_3)
	v_dual_mul_f32 v15, v24, v9 :: v_dual_mul_f32 v11, v25, v11
	v_add3_u32 v9, s31, s24, v10
	v_mul_f32_e32 v10, v26, v12
	s_delay_alu instid0(VALU_DEP_3) | instskip(SKIP_1) | instid1(VALU_DEP_4)
	v_max3_num_f32 v8, v8, |v15|, |v11|
	v_mul_f32_e32 v11, v27, v13
	v_cmp_le_u32_e32 vcc_lo, s33, v9
	s_delay_alu instid0(VALU_DEP_2)
	v_max3_num_f32 v8, v8, |v10|, |v11|
	s_or_not1_b32 s38, vcc_lo, exec_lo
	s_branch .LBB1_54
.LBB1_61:
	s_or_b32 exec_lo, exec_lo, s25
.LBB1_62:
	s_delay_alu instid0(SALU_CYCLE_1)
	s_or_b32 exec_lo, exec_lo, s22
	ds_bpermute_b32 v3, v3, v8
	v_or_b32_e32 v9, 0x80, v2
	s_wait_dscnt 0x0
	v_cmp_lt_f32_e32 vcc_lo, v8, v3
	v_cndmask_b32_e32 v3, v8, v3, vcc_lo
	s_delay_alu instid0(VALU_DEP_1) | instskip(SKIP_1) | instid1(SALU_CYCLE_1)
	v_cndmask_b32_e64 v3, v8, v3, s1
	s_or_b32 s1, s1, s2
	s_or_b32 s1, s3, s1
	s_delay_alu instid0(SALU_CYCLE_1)
	s_or_b32 s1, s4, s1
	ds_bpermute_b32 v4, v4, v3
	s_or_b32 s1, s5, s1
	s_wait_dscnt 0x0
	v_cmp_lt_f32_e32 vcc_lo, v3, v4
	v_cndmask_b32_e32 v4, v3, v4, vcc_lo
	s_delay_alu instid0(VALU_DEP_1) | instskip(SKIP_4) | instid1(VALU_DEP_1)
	v_cndmask_b32_e64 v3, v3, v4, s2
	ds_bpermute_b32 v4, v5, v3
	s_wait_dscnt 0x0
	v_cmp_lt_f32_e32 vcc_lo, v3, v4
	v_cndmask_b32_e32 v4, v3, v4, vcc_lo
	v_cndmask_b32_e64 v3, v3, v4, s3
	ds_bpermute_b32 v4, v6, v3
	s_wait_dscnt 0x0
	v_cmp_lt_f32_e32 vcc_lo, v3, v4
	v_cndmask_b32_e32 v4, v3, v4, vcc_lo
	s_delay_alu instid0(VALU_DEP_1) | instskip(SKIP_4) | instid1(VALU_DEP_1)
	v_cndmask_b32_e64 v3, v3, v4, s4
	ds_bpermute_b32 v4, v7, v3
	s_wait_dscnt 0x0
	v_cmp_lt_f32_e32 vcc_lo, v3, v4
	v_cndmask_b32_e32 v4, v3, v4, vcc_lo
	v_cndmask_b32_e64 v3, v3, v4, s5
	ds_bpermute_b32 v4, v9, v3
	s_wait_dscnt 0x0
	v_cmp_lt_f32_e32 vcc_lo, v3, v4
	s_and_b32 vcc_lo, s8, vcc_lo
	v_cndmask_b32_e32 v3, v3, v4, vcc_lo
	s_or_b32 vcc_lo, s8, s1
	s_delay_alu instid0(VALU_DEP_1)
	v_cndmask_b32_e32 v3, v8, v3, vcc_lo
	s_and_saveexec_b32 s1, s6
; %bb.63:
	v_lshrrev_b32_e32 v4, 4, v0
	s_delay_alu instid0(VALU_DEP_1)
	v_and_b32_e32 v4, 60, v4
	ds_store_b32 v4, v3 offset:64
; %bb.64:
	s_or_b32 exec_lo, exec_lo, s1
	s_wait_dscnt 0x0
	s_barrier_signal -1
	s_barrier_wait -1
	s_and_saveexec_b32 s3, s7
	s_cbranch_execz .LBB1_66
; %bb.65:
	ds_load_b32 v3, v2 offset:64
	v_and_b32_e32 v4, 15, v1
	s_add_co_i32 s1, s24, 63
	v_or_b32_e32 v2, 32, v2
	s_lshr_b32 s2, s1, 6
	s_delay_alu instid0(VALU_DEP_2) | instskip(SKIP_4) | instid1(VALU_DEP_3)
	v_cmp_ne_u32_e32 vcc_lo, 15, v4
	v_add_nc_u32_e32 v6, 1, v4
	v_cmp_gt_u32_e64 s1, 12, v4
	v_add_co_ci_u32_e64 v5, null, 0, v1, vcc_lo
	v_cmp_gt_u32_e32 vcc_lo, 14, v4
	v_cndmask_b32_e64 v8, 0, 4, s1
	s_delay_alu instid0(VALU_DEP_3)
	v_lshlrev_b32_e32 v5, 2, v5
	v_cndmask_b32_e64 v7, 0, 2, vcc_lo
	s_wait_dscnt 0x0
	ds_bpermute_b32 v5, v5, v3
	v_add_lshl_u32 v7, v7, v1, 2
	v_add_lshl_u32 v1, v8, v1, 2
	s_wait_dscnt 0x0
	v_cmp_lt_f32_e32 vcc_lo, v3, v5
	v_cndmask_b32_e32 v5, v3, v5, vcc_lo
	v_cmp_gt_u32_e32 vcc_lo, s2, v6
	s_delay_alu instid0(VALU_DEP_2) | instskip(SKIP_3) | instid1(VALU_DEP_1)
	v_cndmask_b32_e32 v5, v3, v5, vcc_lo
	ds_bpermute_b32 v6, v7, v5
	s_wait_dscnt 0x0
	v_cmp_lt_f32_e64 s1, v5, v6
	v_dual_cndmask_b32 v6, v5, v6, s1 :: v_dual_add_nc_u32 v7, 2, v4
	s_delay_alu instid0(VALU_DEP_1) | instskip(NEXT) | instid1(VALU_DEP_1)
	v_cmp_gt_u32_e64 s1, s2, v7
	v_dual_cndmask_b32 v5, v5, v6, s1 :: v_dual_add_nc_u32 v6, 4, v4
	v_add_nc_u32_e32 v4, 8, v4
	ds_bpermute_b32 v1, v1, v5
	s_wait_dscnt 0x0
	v_cmp_lt_f32_e64 s1, v5, v1
	s_delay_alu instid0(VALU_DEP_1) | instskip(SKIP_1) | instid1(VALU_DEP_1)
	v_cndmask_b32_e64 v1, v5, v1, s1
	v_cmp_gt_u32_e64 s1, s2, v6
	v_cndmask_b32_e64 v1, v5, v1, s1
	v_cmp_gt_u32_e64 s1, s2, v4
	ds_bpermute_b32 v2, v2, v1
	s_wait_dscnt 0x0
	v_cmp_lt_f32_e64 s2, v1, v2
	s_and_b32 s1, s1, s2
	s_delay_alu instid0(SALU_CYCLE_1) | instskip(NEXT) | instid1(VALU_DEP_1)
	v_cndmask_b32_e64 v1, v1, v2, s1
	v_cndmask_b32_e32 v3, v3, v1, vcc_lo
.LBB1_66:
	s_or_b32 exec_lo, exec_lo, s3
	s_and_saveexec_b32 s1, s9
	s_cbranch_execz .LBB1_70
; %bb.67:
	s_cmp_eq_u64 s[20:21], 0
	s_cbranch_scc1 .LBB1_69
; %bb.68:
	v_dual_mov_b32 v1, 0 :: v_dual_max_num_f32 v2, v3, v3
	global_load_b32 v1, v1, s[20:21]
	s_wait_loadcnt 0x0
	v_max_num_f32_e32 v1, v1, v1
	s_delay_alu instid0(VALU_DEP_1)
	v_min_num_f32_e32 v3, v2, v1
.LBB1_69:
	s_delay_alu instid0(VALU_DEP_1)
	v_div_scale_f32 v1, null, 0x43600000, 0x43600000, v3
	v_div_scale_f32 v5, vcc_lo, v3, 0x43600000, v3
	s_lshl_b64 s[2:3], s[28:29], 2
	v_rcp_f32_e32 v2, v1
	s_add_nc_u64 s[2:3], s[14:15], s[2:3]
	v_nop
	s_delay_alu instid0(TRANS32_DEP_1) | instskip(NEXT) | instid1(VALU_DEP_1)
	v_fma_f32 v4, -v1, v2, 1.0
	v_fmac_f32_e32 v2, v4, v2
	s_delay_alu instid0(VALU_DEP_1) | instskip(NEXT) | instid1(VALU_DEP_1)
	v_mul_f32_e32 v4, v5, v2
	v_fma_f32 v6, -v1, v4, v5
	s_delay_alu instid0(VALU_DEP_1) | instskip(NEXT) | instid1(VALU_DEP_1)
	v_fmac_f32_e32 v4, v6, v2
	v_fma_f32 v1, -v1, v4, v5
	s_delay_alu instid0(VALU_DEP_1) | instskip(SKIP_1) | instid1(VALU_DEP_2)
	v_div_fmas_f32 v1, v1, v2, v4
	v_mov_b32_e32 v2, 0
	v_div_fixup_f32 v1, v1, 0x43600000, v3
	s_delay_alu instid0(VALU_DEP_1)
	v_max_num_f32_e32 v1, 0x37124925, v1
	ds_store_b32 v2, v1 offset:260
	global_store_b32 v2, v1, s[2:3]
.LBB1_70:
	s_wait_xcnt 0x0
	s_or_b32 exec_lo, exec_lo, s1
	s_wait_storecnt_dscnt 0x0
	s_barrier_signal -1
	s_barrier_wait -1
	s_and_saveexec_b32 s1, s0
	s_cbranch_execz .LBB1_207
; %bb.71:
	v_mov_b32_e32 v1, 0
	s_add_nc_u64 s[0:1], s[12:13], s[26:27]
	s_lshl_b32 s2, s24, 1
	s_mul_i32 s3, s24, 3
	s_mov_b32 s4, 0
	ds_load_b32 v15, v1 offset:260
	s_mov_b32 s5, 0x43600000
	s_add_co_i32 s6, s24, s24
	s_branch .LBB1_77
.LBB1_72:                               ;   in Loop: Header=BB1_77 Depth=1
	s_or_b32 exec_lo, exec_lo, s14
.LBB1_73:                               ;   in Loop: Header=BB1_77 Depth=1
	s_delay_alu instid0(SALU_CYCLE_1) | instskip(SKIP_3) | instid1(VALU_DEP_2)
	s_or_b32 exec_lo, exec_lo, s12
	v_lshl_add_u64 v[8:9], v[0:1], 2, s[0:1]
	v_add3_u32 v0, s6, s24, v10
	v_or_b32_e32 v2, v3, v2
	v_cmp_le_u32_e32 vcc_lo, s33, v0
	s_delay_alu instid0(VALU_DEP_2)
	v_or3_b32 v2, v2, v4, v7
	s_or_not1_b32 s12, vcc_lo, exec_lo
	global_store_b32 v[8:9], v2, off
.LBB1_74:                               ;   in Loop: Header=BB1_77 Depth=1
	s_wait_xcnt 0x0
	s_or_b32 exec_lo, exec_lo, s9
	s_delay_alu instid0(SALU_CYCLE_1)
	s_or_not1_b32 s9, s12, exec_lo
.LBB1_75:                               ;   in Loop: Header=BB1_77 Depth=1
	s_or_b32 exec_lo, exec_lo, s8
	s_delay_alu instid0(SALU_CYCLE_1)
	s_or_not1_b32 s8, s9, exec_lo
.LBB1_76:                               ;   in Loop: Header=BB1_77 Depth=1
	s_or_b32 exec_lo, exec_lo, s7
	s_delay_alu instid0(SALU_CYCLE_1) | instskip(NEXT) | instid1(SALU_CYCLE_1)
	s_and_b32 s7, exec_lo, s8
	s_or_b32 s4, s7, s4
	s_delay_alu instid0(SALU_CYCLE_1)
	s_and_not1_b32 exec_lo, exec_lo, s4
	s_cbranch_execz .LBB1_207
.LBB1_77:                               ; =>This Inner Loop Header: Depth=1
	s_clause 0x2
	global_load_b128 v[6:9], v0, s[10:11] scale_offset
	global_load_b128 v[10:13], v0, s[16:17] scale_offset
	;; [unrolled: 1-line block ×3, first 2 shown]
	s_mov_b32 s7, exec_lo
	s_wait_loadcnt 0x1
	v_pk_add_f32 v[6:7], v[6:7], v[10:11]
	v_pk_add_f32 v[8:9], v[8:9], v[12:13]
	s_delay_alu instid0(VALU_DEP_2) | instskip(SKIP_4) | instid1(VALU_DEP_1)
	v_mul_f32_e32 v10, v14, v6
	global_store_b128 v0, v[6:9], s[16:17] scale_offset
	s_wait_loadcnt 0x0
	v_mul_f32_e32 v2, v2, v10
	s_wait_dscnt 0x0
	v_div_scale_f32 v10, null, v15, v15, v2
	v_div_scale_f32 v17, vcc_lo, v2, v15, v2
	s_delay_alu instid0(VALU_DEP_2) | instskip(SKIP_1) | instid1(TRANS32_DEP_1)
	v_rcp_f32_e32 v11, v10
	v_nop
	v_fma_f32 v16, -v10, v11, 1.0
	s_delay_alu instid0(VALU_DEP_1) | instskip(NEXT) | instid1(VALU_DEP_1)
	v_fmac_f32_e32 v11, v16, v11
	v_mul_f32_e32 v16, v17, v11
	s_delay_alu instid0(VALU_DEP_1) | instskip(NEXT) | instid1(VALU_DEP_1)
	v_fma_f32 v18, -v10, v16, v17
	v_fmac_f32_e32 v16, v18, v11
	s_delay_alu instid0(VALU_DEP_1) | instskip(NEXT) | instid1(VALU_DEP_1)
	v_fma_f32 v10, -v10, v16, v17
	v_div_fmas_f32 v10, v10, v11, v16
	s_delay_alu instid0(VALU_DEP_1) | instskip(NEXT) | instid1(VALU_DEP_1)
	v_div_fixup_f32 v2, v10, v15, v2
	v_minmax_num_f32 v10, v2, s5, 0xc3600000
	v_mov_b32_e32 v2, 0x80
	s_delay_alu instid0(VALU_DEP_2) | instskip(SKIP_1) | instid1(VALU_DEP_1)
	v_and_b32_e32 v11, 0x7fffffff, v10
	s_wait_xcnt 0x0
	v_cmpx_gt_u32_e32 0x43800000, v11
	s_cbranch_execz .LBB1_83
; %bb.78:                               ;   in Loop: Header=BB1_77 Depth=1
	s_mov_b32 s8, 0
	s_mov_b32 s9, exec_lo
                                        ; implicit-def: $vgpr6
	v_cmpx_lt_u32_e32 0x3bffffff, v11
	s_xor_b32 s9, exec_lo, s9
	s_cbranch_execnz .LBB1_174
; %bb.79:                               ;   in Loop: Header=BB1_77 Depth=1
	s_and_not1_saveexec_b32 s9, s9
	s_cbranch_execnz .LBB1_175
.LBB1_80:                               ;   in Loop: Header=BB1_77 Depth=1
	s_or_b32 exec_lo, exec_lo, s9
	v_mov_b32_e32 v2, 0
	s_and_saveexec_b32 s9, s8
.LBB1_81:                               ;   in Loop: Header=BB1_77 Depth=1
	v_lshrrev_b32_e32 v2, 24, v10
	s_delay_alu instid0(VALU_DEP_1)
	v_and_or_b32 v2, 0x80, v2, v6
.LBB1_82:                               ;   in Loop: Header=BB1_77 Depth=1
	s_or_b32 exec_lo, exec_lo, s9
.LBB1_83:                               ;   in Loop: Header=BB1_77 Depth=1
	s_delay_alu instid0(SALU_CYCLE_1) | instskip(SKIP_2) | instid1(VALU_DEP_1)
	s_or_b32 exec_lo, exec_lo, s7
	v_mul_f32_e32 v6, v14, v7
	s_mov_b32 s7, exec_lo
	v_mul_f32_e32 v3, v3, v6
	s_delay_alu instid0(VALU_DEP_1) | instskip(NEXT) | instid1(VALU_DEP_1)
	v_div_scale_f32 v6, null, v15, v15, v3
	v_rcp_f32_e32 v7, v6
	v_nop
	s_delay_alu instid0(TRANS32_DEP_1) | instskip(NEXT) | instid1(VALU_DEP_1)
	v_fma_f32 v10, -v6, v7, 1.0
	v_fmac_f32_e32 v7, v10, v7
	v_div_scale_f32 v11, vcc_lo, v3, v15, v3
	s_delay_alu instid0(VALU_DEP_1) | instskip(NEXT) | instid1(VALU_DEP_1)
	v_mul_f32_e32 v10, v11, v7
	v_fma_f32 v12, -v6, v10, v11
	s_delay_alu instid0(VALU_DEP_1) | instskip(NEXT) | instid1(VALU_DEP_1)
	v_fmac_f32_e32 v10, v12, v7
	v_fma_f32 v6, -v6, v10, v11
	s_delay_alu instid0(VALU_DEP_1) | instskip(NEXT) | instid1(VALU_DEP_1)
	v_div_fmas_f32 v6, v6, v7, v10
	v_div_fixup_f32 v3, v6, v15, v3
	s_delay_alu instid0(VALU_DEP_1) | instskip(SKIP_1) | instid1(VALU_DEP_2)
	v_minmax_num_f32 v6, v3, s5, 0xc3600000
	v_mov_b32_e32 v3, 0x8000
	v_and_b32_e32 v7, 0x7fffffff, v6
	s_delay_alu instid0(VALU_DEP_1)
	v_cmpx_gt_u32_e32 0x43800000, v7
	s_cbranch_execz .LBB1_89
; %bb.84:                               ;   in Loop: Header=BB1_77 Depth=1
	v_cmp_lt_u32_e32 vcc_lo, 0x3bffffff, v7
	s_mov_b32 s8, 0
                                        ; implicit-def: $vgpr7
	s_and_saveexec_b32 s9, vcc_lo
	s_delay_alu instid0(SALU_CYCLE_1)
	s_xor_b32 s9, exec_lo, s9
	s_cbranch_execnz .LBB1_176
; %bb.85:                               ;   in Loop: Header=BB1_77 Depth=1
	s_and_not1_saveexec_b32 s9, s9
	s_cbranch_execnz .LBB1_177
.LBB1_86:                               ;   in Loop: Header=BB1_77 Depth=1
	s_or_b32 exec_lo, exec_lo, s9
	v_mov_b32_e32 v3, 0
	s_and_saveexec_b32 s9, s8
.LBB1_87:                               ;   in Loop: Header=BB1_77 Depth=1
	v_lshrrev_b32_e32 v3, 24, v6
	s_delay_alu instid0(VALU_DEP_1) | instskip(NEXT) | instid1(VALU_DEP_1)
	v_and_or_b32 v3, 0x80, v3, v7
	v_lshlrev_b32_e32 v3, 8, v3
.LBB1_88:                               ;   in Loop: Header=BB1_77 Depth=1
	s_or_b32 exec_lo, exec_lo, s9
.LBB1_89:                               ;   in Loop: Header=BB1_77 Depth=1
	s_delay_alu instid0(SALU_CYCLE_1) | instskip(SKIP_2) | instid1(VALU_DEP_1)
	s_or_b32 exec_lo, exec_lo, s7
	v_mul_f32_e32 v6, v14, v8
	s_mov_b32 s7, exec_lo
	v_mul_f32_e32 v4, v4, v6
	s_delay_alu instid0(VALU_DEP_1) | instskip(SKIP_1) | instid1(VALU_DEP_2)
	v_div_scale_f32 v6, null, v15, v15, v4
	v_div_scale_f32 v10, vcc_lo, v4, v15, v4
	v_rcp_f32_e32 v7, v6
	v_nop
	s_delay_alu instid0(TRANS32_DEP_1) | instskip(NEXT) | instid1(VALU_DEP_1)
	v_fma_f32 v8, -v6, v7, 1.0
	v_fmac_f32_e32 v7, v8, v7
	s_delay_alu instid0(VALU_DEP_1) | instskip(NEXT) | instid1(VALU_DEP_1)
	v_mul_f32_e32 v8, v10, v7
	v_fma_f32 v11, -v6, v8, v10
	s_delay_alu instid0(VALU_DEP_1) | instskip(NEXT) | instid1(VALU_DEP_1)
	v_fmac_f32_e32 v8, v11, v7
	v_fma_f32 v6, -v6, v8, v10
	s_delay_alu instid0(VALU_DEP_1) | instskip(NEXT) | instid1(VALU_DEP_1)
	v_div_fmas_f32 v6, v6, v7, v8
	v_div_fixup_f32 v4, v6, v15, v4
	s_delay_alu instid0(VALU_DEP_1) | instskip(SKIP_1) | instid1(VALU_DEP_2)
	v_minmax_num_f32 v6, v4, s5, 0xc3600000
	v_mov_b32_e32 v4, 0x800000
	v_and_b32_e32 v7, 0x7fffffff, v6
	s_delay_alu instid0(VALU_DEP_1)
	v_cmpx_gt_u32_e32 0x43800000, v7
	s_cbranch_execz .LBB1_95
; %bb.90:                               ;   in Loop: Header=BB1_77 Depth=1
	v_cmp_lt_u32_e32 vcc_lo, 0x3bffffff, v7
	s_mov_b32 s8, 0
                                        ; implicit-def: $vgpr7
	s_and_saveexec_b32 s9, vcc_lo
	s_delay_alu instid0(SALU_CYCLE_1)
	s_xor_b32 s9, exec_lo, s9
	s_cbranch_execnz .LBB1_178
; %bb.91:                               ;   in Loop: Header=BB1_77 Depth=1
	s_and_not1_saveexec_b32 s9, s9
	s_cbranch_execnz .LBB1_179
.LBB1_92:                               ;   in Loop: Header=BB1_77 Depth=1
	s_or_b32 exec_lo, exec_lo, s9
	v_mov_b32_e32 v4, 0
	s_and_saveexec_b32 s9, s8
.LBB1_93:                               ;   in Loop: Header=BB1_77 Depth=1
	v_lshrrev_b32_e32 v4, 24, v6
	s_delay_alu instid0(VALU_DEP_1) | instskip(NEXT) | instid1(VALU_DEP_1)
	v_and_or_b32 v4, 0x80, v4, v7
	v_lshlrev_b32_e32 v4, 16, v4
.LBB1_94:                               ;   in Loop: Header=BB1_77 Depth=1
	s_or_b32 exec_lo, exec_lo, s9
.LBB1_95:                               ;   in Loop: Header=BB1_77 Depth=1
	s_delay_alu instid0(SALU_CYCLE_1) | instskip(SKIP_2) | instid1(VALU_DEP_1)
	s_or_b32 exec_lo, exec_lo, s7
	v_mul_f32_e32 v6, v14, v9
	s_mov_b32 s7, exec_lo
	v_mul_f32_e32 v5, v5, v6
	s_delay_alu instid0(VALU_DEP_1) | instskip(SKIP_1) | instid1(VALU_DEP_2)
	v_div_scale_f32 v6, null, v15, v15, v5
	v_div_scale_f32 v9, vcc_lo, v5, v15, v5
	v_rcp_f32_e32 v7, v6
	v_nop
	s_delay_alu instid0(TRANS32_DEP_1) | instskip(NEXT) | instid1(VALU_DEP_1)
	v_fma_f32 v8, -v6, v7, 1.0
	v_fmac_f32_e32 v7, v8, v7
	s_delay_alu instid0(VALU_DEP_1) | instskip(NEXT) | instid1(VALU_DEP_1)
	v_mul_f32_e32 v8, v9, v7
	v_fma_f32 v10, -v6, v8, v9
	s_delay_alu instid0(VALU_DEP_1) | instskip(NEXT) | instid1(VALU_DEP_1)
	v_fmac_f32_e32 v8, v10, v7
	v_fma_f32 v6, -v6, v8, v9
	s_delay_alu instid0(VALU_DEP_1) | instskip(SKIP_1) | instid1(VALU_DEP_2)
	v_div_fmas_f32 v6, v6, v7, v8
	v_bfrev_b32_e32 v7, 1
	v_div_fixup_f32 v5, v6, v15, v5
	s_delay_alu instid0(VALU_DEP_1) | instskip(NEXT) | instid1(VALU_DEP_1)
	v_minmax_num_f32 v5, v5, s5, 0xc3600000
	v_and_b32_e32 v6, 0x7fffffff, v5
	s_delay_alu instid0(VALU_DEP_1)
	v_cmpx_gt_u32_e32 0x43800000, v6
	s_cbranch_execz .LBB1_101
; %bb.96:                               ;   in Loop: Header=BB1_77 Depth=1
	v_cmp_lt_u32_e32 vcc_lo, 0x3bffffff, v6
	s_mov_b32 s8, 0
                                        ; implicit-def: $vgpr6
	s_and_saveexec_b32 s9, vcc_lo
	s_delay_alu instid0(SALU_CYCLE_1)
	s_xor_b32 s9, exec_lo, s9
	s_cbranch_execnz .LBB1_180
; %bb.97:                               ;   in Loop: Header=BB1_77 Depth=1
	s_and_not1_saveexec_b32 s9, s9
	s_cbranch_execnz .LBB1_181
.LBB1_98:                               ;   in Loop: Header=BB1_77 Depth=1
	s_or_b32 exec_lo, exec_lo, s9
	v_mov_b32_e32 v7, 0
	s_and_saveexec_b32 s9, s8
.LBB1_99:                               ;   in Loop: Header=BB1_77 Depth=1
	v_and_b32_e32 v5, 0x80000000, v5
	s_delay_alu instid0(VALU_DEP_1)
	v_lshl_or_b32 v7, v6, 24, v5
.LBB1_100:                              ;   in Loop: Header=BB1_77 Depth=1
	s_or_b32 exec_lo, exec_lo, s9
.LBB1_101:                              ;   in Loop: Header=BB1_77 Depth=1
	s_delay_alu instid0(SALU_CYCLE_1) | instskip(SKIP_4) | instid1(VALU_DEP_2)
	s_or_b32 exec_lo, exec_lo, s7
	v_dual_add_nc_u32 v10, s24, v0 :: v_dual_bitop2_b32 v5, v3, v2 bitop3:0x54
	v_lshl_add_u64 v[2:3], v[0:1], 2, s[0:1]
	s_mov_b32 s8, -1
	s_mov_b32 s7, exec_lo
	v_or3_b32 v4, v5, v4, v7
	global_store_b32 v[2:3], v4, off
	s_wait_xcnt 0x0
	v_cmpx_gt_u32_e64 s33, v10
	s_cbranch_execz .LBB1_76
; %bb.102:                              ;   in Loop: Header=BB1_77 Depth=1
	s_clause 0x2
	global_load_b128 v[6:9], v10, s[10:11] scale_offset
	global_load_b128 v[16:19], v10, s[16:17] scale_offset
	;; [unrolled: 1-line block ×3, first 2 shown]
	s_mov_b32 s8, exec_lo
	s_wait_loadcnt 0x1
	v_pk_add_f32 v[6:7], v[6:7], v[16:17]
	v_pk_add_f32 v[8:9], v[8:9], v[18:19]
	s_delay_alu instid0(VALU_DEP_2) | instskip(SKIP_3) | instid1(VALU_DEP_1)
	v_mul_f32_e32 v11, v14, v6
	global_store_b128 v10, v[6:9], s[16:17] scale_offset
	s_wait_loadcnt 0x0
	v_mul_f32_e32 v2, v2, v11
	v_div_scale_f32 v11, null, v15, v15, v2
	v_div_scale_f32 v16, vcc_lo, v2, v15, v2
	s_delay_alu instid0(VALU_DEP_2) | instskip(SKIP_1) | instid1(TRANS32_DEP_1)
	v_rcp_f32_e32 v12, v11
	v_nop
	v_fma_f32 v13, -v11, v12, 1.0
	s_delay_alu instid0(VALU_DEP_1) | instskip(NEXT) | instid1(VALU_DEP_1)
	v_fmac_f32_e32 v12, v13, v12
	v_mul_f32_e32 v13, v16, v12
	s_delay_alu instid0(VALU_DEP_1) | instskip(NEXT) | instid1(VALU_DEP_1)
	v_fma_f32 v17, -v11, v13, v16
	v_fmac_f32_e32 v13, v17, v12
	s_delay_alu instid0(VALU_DEP_1) | instskip(NEXT) | instid1(VALU_DEP_1)
	v_fma_f32 v11, -v11, v13, v16
	v_div_fmas_f32 v11, v11, v12, v13
	s_delay_alu instid0(VALU_DEP_1) | instskip(NEXT) | instid1(VALU_DEP_1)
	v_div_fixup_f32 v2, v11, v15, v2
	v_minmax_num_f32 v11, v2, s5, 0xc3600000
	v_mov_b32_e32 v2, 0x80
	s_delay_alu instid0(VALU_DEP_2) | instskip(SKIP_1) | instid1(VALU_DEP_1)
	v_and_b32_e32 v12, 0x7fffffff, v11
	s_wait_xcnt 0x0
	v_cmpx_gt_u32_e32 0x43800000, v12
	s_cbranch_execz .LBB1_108
; %bb.103:                              ;   in Loop: Header=BB1_77 Depth=1
	s_mov_b32 s9, 0
	s_mov_b32 s12, exec_lo
                                        ; implicit-def: $vgpr6
	v_cmpx_lt_u32_e32 0x3bffffff, v12
	s_xor_b32 s12, exec_lo, s12
	s_cbranch_execnz .LBB1_182
; %bb.104:                              ;   in Loop: Header=BB1_77 Depth=1
	s_and_not1_saveexec_b32 s12, s12
	s_cbranch_execnz .LBB1_183
.LBB1_105:                              ;   in Loop: Header=BB1_77 Depth=1
	s_or_b32 exec_lo, exec_lo, s12
	v_mov_b32_e32 v2, 0
	s_and_saveexec_b32 s12, s9
.LBB1_106:                              ;   in Loop: Header=BB1_77 Depth=1
	v_lshrrev_b32_e32 v2, 24, v11
	s_delay_alu instid0(VALU_DEP_1)
	v_and_or_b32 v2, 0x80, v2, v6
.LBB1_107:                              ;   in Loop: Header=BB1_77 Depth=1
	s_or_b32 exec_lo, exec_lo, s12
.LBB1_108:                              ;   in Loop: Header=BB1_77 Depth=1
	s_delay_alu instid0(SALU_CYCLE_1) | instskip(SKIP_2) | instid1(VALU_DEP_1)
	s_or_b32 exec_lo, exec_lo, s8
	v_mul_f32_e32 v6, v14, v7
	s_mov_b32 s8, exec_lo
	v_mul_f32_e32 v3, v3, v6
	s_delay_alu instid0(VALU_DEP_1) | instskip(SKIP_1) | instid1(VALU_DEP_2)
	v_div_scale_f32 v6, null, v15, v15, v3
	v_div_scale_f32 v12, vcc_lo, v3, v15, v3
	v_rcp_f32_e32 v7, v6
	v_nop
	s_delay_alu instid0(TRANS32_DEP_1) | instskip(NEXT) | instid1(VALU_DEP_1)
	v_fma_f32 v11, -v6, v7, 1.0
	v_fmac_f32_e32 v7, v11, v7
	s_delay_alu instid0(VALU_DEP_1) | instskip(NEXT) | instid1(VALU_DEP_1)
	v_mul_f32_e32 v11, v12, v7
	v_fma_f32 v13, -v6, v11, v12
	s_delay_alu instid0(VALU_DEP_1) | instskip(NEXT) | instid1(VALU_DEP_1)
	v_fmac_f32_e32 v11, v13, v7
	v_fma_f32 v6, -v6, v11, v12
	s_delay_alu instid0(VALU_DEP_1) | instskip(NEXT) | instid1(VALU_DEP_1)
	v_div_fmas_f32 v6, v6, v7, v11
	v_div_fixup_f32 v3, v6, v15, v3
	s_delay_alu instid0(VALU_DEP_1) | instskip(SKIP_1) | instid1(VALU_DEP_2)
	v_minmax_num_f32 v6, v3, s5, 0xc3600000
	v_mov_b32_e32 v3, 0x8000
	v_and_b32_e32 v7, 0x7fffffff, v6
	s_delay_alu instid0(VALU_DEP_1)
	v_cmpx_gt_u32_e32 0x43800000, v7
	s_cbranch_execz .LBB1_114
; %bb.109:                              ;   in Loop: Header=BB1_77 Depth=1
	v_cmp_lt_u32_e32 vcc_lo, 0x3bffffff, v7
	s_mov_b32 s9, 0
                                        ; implicit-def: $vgpr7
	s_and_saveexec_b32 s12, vcc_lo
	s_delay_alu instid0(SALU_CYCLE_1)
	s_xor_b32 s12, exec_lo, s12
	s_cbranch_execnz .LBB1_184
; %bb.110:                              ;   in Loop: Header=BB1_77 Depth=1
	s_and_not1_saveexec_b32 s12, s12
	s_cbranch_execnz .LBB1_185
.LBB1_111:                              ;   in Loop: Header=BB1_77 Depth=1
	s_or_b32 exec_lo, exec_lo, s12
	v_mov_b32_e32 v3, 0
	s_and_saveexec_b32 s12, s9
.LBB1_112:                              ;   in Loop: Header=BB1_77 Depth=1
	v_lshrrev_b32_e32 v3, 24, v6
	s_delay_alu instid0(VALU_DEP_1) | instskip(NEXT) | instid1(VALU_DEP_1)
	v_and_or_b32 v3, 0x80, v3, v7
	v_lshlrev_b32_e32 v3, 8, v3
.LBB1_113:                              ;   in Loop: Header=BB1_77 Depth=1
	s_or_b32 exec_lo, exec_lo, s12
.LBB1_114:                              ;   in Loop: Header=BB1_77 Depth=1
	s_delay_alu instid0(SALU_CYCLE_1) | instskip(SKIP_2) | instid1(VALU_DEP_1)
	s_or_b32 exec_lo, exec_lo, s8
	v_mul_f32_e32 v6, v14, v8
	s_mov_b32 s8, exec_lo
	v_mul_f32_e32 v4, v4, v6
	s_delay_alu instid0(VALU_DEP_1) | instskip(SKIP_1) | instid1(VALU_DEP_2)
	v_div_scale_f32 v6, null, v15, v15, v4
	v_div_scale_f32 v11, vcc_lo, v4, v15, v4
	v_rcp_f32_e32 v7, v6
	v_nop
	s_delay_alu instid0(TRANS32_DEP_1) | instskip(NEXT) | instid1(VALU_DEP_1)
	v_fma_f32 v8, -v6, v7, 1.0
	v_fmac_f32_e32 v7, v8, v7
	s_delay_alu instid0(VALU_DEP_1) | instskip(NEXT) | instid1(VALU_DEP_1)
	v_mul_f32_e32 v8, v11, v7
	v_fma_f32 v12, -v6, v8, v11
	s_delay_alu instid0(VALU_DEP_1) | instskip(NEXT) | instid1(VALU_DEP_1)
	v_fmac_f32_e32 v8, v12, v7
	v_fma_f32 v6, -v6, v8, v11
	s_delay_alu instid0(VALU_DEP_1) | instskip(NEXT) | instid1(VALU_DEP_1)
	v_div_fmas_f32 v6, v6, v7, v8
	v_div_fixup_f32 v4, v6, v15, v4
	s_delay_alu instid0(VALU_DEP_1) | instskip(SKIP_1) | instid1(VALU_DEP_2)
	v_minmax_num_f32 v6, v4, s5, 0xc3600000
	v_mov_b32_e32 v4, 0x800000
	v_and_b32_e32 v7, 0x7fffffff, v6
	s_delay_alu instid0(VALU_DEP_1)
	v_cmpx_gt_u32_e32 0x43800000, v7
	s_cbranch_execz .LBB1_120
; %bb.115:                              ;   in Loop: Header=BB1_77 Depth=1
	v_cmp_lt_u32_e32 vcc_lo, 0x3bffffff, v7
	s_mov_b32 s9, 0
                                        ; implicit-def: $vgpr7
	s_and_saveexec_b32 s12, vcc_lo
	s_delay_alu instid0(SALU_CYCLE_1)
	s_xor_b32 s12, exec_lo, s12
	s_cbranch_execnz .LBB1_186
; %bb.116:                              ;   in Loop: Header=BB1_77 Depth=1
	s_and_not1_saveexec_b32 s12, s12
	s_cbranch_execnz .LBB1_187
.LBB1_117:                              ;   in Loop: Header=BB1_77 Depth=1
	s_or_b32 exec_lo, exec_lo, s12
	v_mov_b32_e32 v4, 0
	s_and_saveexec_b32 s12, s9
.LBB1_118:                              ;   in Loop: Header=BB1_77 Depth=1
	v_lshrrev_b32_e32 v4, 24, v6
	s_delay_alu instid0(VALU_DEP_1) | instskip(NEXT) | instid1(VALU_DEP_1)
	v_and_or_b32 v4, 0x80, v4, v7
	v_lshlrev_b32_e32 v4, 16, v4
.LBB1_119:                              ;   in Loop: Header=BB1_77 Depth=1
	s_or_b32 exec_lo, exec_lo, s12
.LBB1_120:                              ;   in Loop: Header=BB1_77 Depth=1
	s_delay_alu instid0(SALU_CYCLE_1) | instskip(SKIP_2) | instid1(VALU_DEP_1)
	s_or_b32 exec_lo, exec_lo, s8
	v_mul_f32_e32 v6, v14, v9
	s_mov_b32 s8, exec_lo
	v_mul_f32_e32 v5, v5, v6
	s_delay_alu instid0(VALU_DEP_1) | instskip(SKIP_1) | instid1(VALU_DEP_2)
	v_div_scale_f32 v6, null, v15, v15, v5
	v_div_scale_f32 v9, vcc_lo, v5, v15, v5
	v_rcp_f32_e32 v7, v6
	v_nop
	s_delay_alu instid0(TRANS32_DEP_1) | instskip(NEXT) | instid1(VALU_DEP_1)
	v_fma_f32 v8, -v6, v7, 1.0
	v_fmac_f32_e32 v7, v8, v7
	s_delay_alu instid0(VALU_DEP_1) | instskip(NEXT) | instid1(VALU_DEP_1)
	v_mul_f32_e32 v8, v9, v7
	v_fma_f32 v11, -v6, v8, v9
	s_delay_alu instid0(VALU_DEP_1) | instskip(NEXT) | instid1(VALU_DEP_1)
	v_fmac_f32_e32 v8, v11, v7
	v_fma_f32 v6, -v6, v8, v9
	s_delay_alu instid0(VALU_DEP_1) | instskip(SKIP_1) | instid1(VALU_DEP_2)
	v_div_fmas_f32 v6, v6, v7, v8
	v_bfrev_b32_e32 v7, 1
	v_div_fixup_f32 v5, v6, v15, v5
	s_delay_alu instid0(VALU_DEP_1) | instskip(NEXT) | instid1(VALU_DEP_1)
	v_minmax_num_f32 v5, v5, s5, 0xc3600000
	v_and_b32_e32 v6, 0x7fffffff, v5
	s_delay_alu instid0(VALU_DEP_1)
	v_cmpx_gt_u32_e32 0x43800000, v6
	s_cbranch_execz .LBB1_126
; %bb.121:                              ;   in Loop: Header=BB1_77 Depth=1
	v_cmp_lt_u32_e32 vcc_lo, 0x3bffffff, v6
	s_mov_b32 s9, 0
                                        ; implicit-def: $vgpr6
	s_and_saveexec_b32 s12, vcc_lo
	s_delay_alu instid0(SALU_CYCLE_1)
	s_xor_b32 s12, exec_lo, s12
	s_cbranch_execnz .LBB1_188
; %bb.122:                              ;   in Loop: Header=BB1_77 Depth=1
	s_and_not1_saveexec_b32 s12, s12
	s_cbranch_execnz .LBB1_189
.LBB1_123:                              ;   in Loop: Header=BB1_77 Depth=1
	s_or_b32 exec_lo, exec_lo, s12
	v_mov_b32_e32 v7, 0
	s_and_saveexec_b32 s12, s9
.LBB1_124:                              ;   in Loop: Header=BB1_77 Depth=1
	v_and_b32_e32 v5, 0x80000000, v5
	s_delay_alu instid0(VALU_DEP_1)
	v_lshl_or_b32 v7, v6, 24, v5
.LBB1_125:                              ;   in Loop: Header=BB1_77 Depth=1
	s_or_b32 exec_lo, exec_lo, s12
.LBB1_126:                              ;   in Loop: Header=BB1_77 Depth=1
	s_delay_alu instid0(SALU_CYCLE_1) | instskip(SKIP_4) | instid1(VALU_DEP_2)
	s_or_b32 exec_lo, exec_lo, s8
	v_dual_mov_b32 v11, v1 :: v_dual_bitop2_b32 v5, v3, v2 bitop3:0x54
	v_add_nc_u32_e32 v12, s2, v0
	s_mov_b32 s9, -1
	s_mov_b32 s8, exec_lo
	v_lshl_add_u64 v[2:3], v[10:11], 2, s[0:1]
	v_or3_b32 v4, v5, v4, v7
	global_store_b32 v[2:3], v4, off
	s_wait_xcnt 0x0
	v_cmpx_gt_u32_e64 s33, v12
	s_cbranch_execz .LBB1_75
; %bb.127:                              ;   in Loop: Header=BB1_77 Depth=1
	s_clause 0x2
	global_load_b128 v[6:9], v12, s[10:11] scale_offset
	global_load_b128 v[16:19], v12, s[16:17] scale_offset
	;; [unrolled: 1-line block ×3, first 2 shown]
	s_mov_b32 s9, exec_lo
	s_wait_loadcnt 0x1
	v_pk_add_f32 v[6:7], v[6:7], v[16:17]
	v_pk_add_f32 v[8:9], v[8:9], v[18:19]
	s_delay_alu instid0(VALU_DEP_2) | instskip(SKIP_3) | instid1(VALU_DEP_1)
	v_mul_f32_e32 v11, v14, v6
	global_store_b128 v12, v[6:9], s[16:17] scale_offset
	s_wait_loadcnt 0x0
	v_mul_f32_e32 v2, v2, v11
	v_div_scale_f32 v11, null, v15, v15, v2
	v_div_scale_f32 v17, vcc_lo, v2, v15, v2
	s_delay_alu instid0(VALU_DEP_2) | instskip(SKIP_1) | instid1(TRANS32_DEP_1)
	v_rcp_f32_e32 v13, v11
	v_nop
	v_fma_f32 v16, -v11, v13, 1.0
	s_delay_alu instid0(VALU_DEP_1) | instskip(NEXT) | instid1(VALU_DEP_1)
	v_fmac_f32_e32 v13, v16, v13
	v_mul_f32_e32 v16, v17, v13
	s_delay_alu instid0(VALU_DEP_1) | instskip(NEXT) | instid1(VALU_DEP_1)
	v_fma_f32 v20, -v11, v16, v17
	v_fmac_f32_e32 v16, v20, v13
	s_delay_alu instid0(VALU_DEP_1) | instskip(NEXT) | instid1(VALU_DEP_1)
	v_fma_f32 v11, -v11, v16, v17
	v_div_fmas_f32 v11, v11, v13, v16
	s_delay_alu instid0(VALU_DEP_1) | instskip(NEXT) | instid1(VALU_DEP_1)
	v_div_fixup_f32 v2, v11, v15, v2
	v_minmax_num_f32 v11, v2, s5, 0xc3600000
	v_mov_b32_e32 v2, 0x80
	s_delay_alu instid0(VALU_DEP_2) | instskip(SKIP_1) | instid1(VALU_DEP_1)
	v_and_b32_e32 v13, 0x7fffffff, v11
	s_wait_xcnt 0x0
	v_cmpx_gt_u32_e32 0x43800000, v13
	s_cbranch_execz .LBB1_133
; %bb.128:                              ;   in Loop: Header=BB1_77 Depth=1
	s_mov_b32 s12, 0
	s_mov_b32 s13, exec_lo
                                        ; implicit-def: $vgpr6
	v_cmpx_lt_u32_e32 0x3bffffff, v13
	s_xor_b32 s13, exec_lo, s13
	s_cbranch_execnz .LBB1_190
; %bb.129:                              ;   in Loop: Header=BB1_77 Depth=1
	s_and_not1_saveexec_b32 s13, s13
	s_cbranch_execnz .LBB1_191
.LBB1_130:                              ;   in Loop: Header=BB1_77 Depth=1
	s_or_b32 exec_lo, exec_lo, s13
	v_mov_b32_e32 v2, 0
	s_and_saveexec_b32 s13, s12
.LBB1_131:                              ;   in Loop: Header=BB1_77 Depth=1
	v_lshrrev_b32_e32 v2, 24, v11
	s_delay_alu instid0(VALU_DEP_1)
	v_and_or_b32 v2, 0x80, v2, v6
.LBB1_132:                              ;   in Loop: Header=BB1_77 Depth=1
	s_or_b32 exec_lo, exec_lo, s13
.LBB1_133:                              ;   in Loop: Header=BB1_77 Depth=1
	s_delay_alu instid0(SALU_CYCLE_1) | instskip(SKIP_2) | instid1(VALU_DEP_1)
	s_or_b32 exec_lo, exec_lo, s9
	v_mul_f32_e32 v6, v14, v7
	s_mov_b32 s9, exec_lo
	v_mul_f32_e32 v3, v3, v6
	s_delay_alu instid0(VALU_DEP_1) | instskip(SKIP_1) | instid1(VALU_DEP_2)
	v_div_scale_f32 v6, null, v15, v15, v3
	v_div_scale_f32 v13, vcc_lo, v3, v15, v3
	v_rcp_f32_e32 v7, v6
	v_nop
	s_delay_alu instid0(TRANS32_DEP_1) | instskip(NEXT) | instid1(VALU_DEP_1)
	v_fma_f32 v11, -v6, v7, 1.0
	v_fmac_f32_e32 v7, v11, v7
	s_delay_alu instid0(VALU_DEP_1) | instskip(NEXT) | instid1(VALU_DEP_1)
	v_mul_f32_e32 v11, v13, v7
	v_fma_f32 v16, -v6, v11, v13
	s_delay_alu instid0(VALU_DEP_1) | instskip(NEXT) | instid1(VALU_DEP_1)
	v_fmac_f32_e32 v11, v16, v7
	v_fma_f32 v6, -v6, v11, v13
	s_delay_alu instid0(VALU_DEP_1) | instskip(NEXT) | instid1(VALU_DEP_1)
	v_div_fmas_f32 v6, v6, v7, v11
	v_div_fixup_f32 v3, v6, v15, v3
	s_delay_alu instid0(VALU_DEP_1) | instskip(SKIP_1) | instid1(VALU_DEP_2)
	v_minmax_num_f32 v6, v3, s5, 0xc3600000
	v_mov_b32_e32 v3, 0x8000
	v_and_b32_e32 v7, 0x7fffffff, v6
	s_delay_alu instid0(VALU_DEP_1)
	v_cmpx_gt_u32_e32 0x43800000, v7
	s_cbranch_execz .LBB1_139
; %bb.134:                              ;   in Loop: Header=BB1_77 Depth=1
	v_cmp_lt_u32_e32 vcc_lo, 0x3bffffff, v7
	s_mov_b32 s12, 0
                                        ; implicit-def: $vgpr7
	s_and_saveexec_b32 s13, vcc_lo
	s_delay_alu instid0(SALU_CYCLE_1)
	s_xor_b32 s13, exec_lo, s13
	s_cbranch_execnz .LBB1_192
; %bb.135:                              ;   in Loop: Header=BB1_77 Depth=1
	s_and_not1_saveexec_b32 s13, s13
	s_cbranch_execnz .LBB1_193
.LBB1_136:                              ;   in Loop: Header=BB1_77 Depth=1
	s_or_b32 exec_lo, exec_lo, s13
	v_mov_b32_e32 v3, 0
	s_and_saveexec_b32 s13, s12
.LBB1_137:                              ;   in Loop: Header=BB1_77 Depth=1
	v_lshrrev_b32_e32 v3, 24, v6
	s_delay_alu instid0(VALU_DEP_1) | instskip(NEXT) | instid1(VALU_DEP_1)
	v_and_or_b32 v3, 0x80, v3, v7
	v_lshlrev_b32_e32 v3, 8, v3
.LBB1_138:                              ;   in Loop: Header=BB1_77 Depth=1
	s_or_b32 exec_lo, exec_lo, s13
.LBB1_139:                              ;   in Loop: Header=BB1_77 Depth=1
	s_delay_alu instid0(SALU_CYCLE_1) | instskip(SKIP_2) | instid1(VALU_DEP_1)
	s_or_b32 exec_lo, exec_lo, s9
	v_mul_f32_e32 v6, v14, v8
	s_mov_b32 s9, exec_lo
	v_mul_f32_e32 v4, v4, v6
	s_delay_alu instid0(VALU_DEP_1) | instskip(SKIP_1) | instid1(VALU_DEP_2)
	v_div_scale_f32 v6, null, v15, v15, v4
	v_div_scale_f32 v11, vcc_lo, v4, v15, v4
	v_rcp_f32_e32 v7, v6
	v_nop
	s_delay_alu instid0(TRANS32_DEP_1) | instskip(NEXT) | instid1(VALU_DEP_1)
	v_fma_f32 v8, -v6, v7, 1.0
	v_fmac_f32_e32 v7, v8, v7
	s_delay_alu instid0(VALU_DEP_1) | instskip(NEXT) | instid1(VALU_DEP_1)
	v_mul_f32_e32 v8, v11, v7
	v_fma_f32 v13, -v6, v8, v11
	s_delay_alu instid0(VALU_DEP_1) | instskip(NEXT) | instid1(VALU_DEP_1)
	v_fmac_f32_e32 v8, v13, v7
	v_fma_f32 v6, -v6, v8, v11
	s_delay_alu instid0(VALU_DEP_1) | instskip(NEXT) | instid1(VALU_DEP_1)
	v_div_fmas_f32 v6, v6, v7, v8
	v_div_fixup_f32 v4, v6, v15, v4
	s_delay_alu instid0(VALU_DEP_1) | instskip(SKIP_1) | instid1(VALU_DEP_2)
	v_minmax_num_f32 v6, v4, s5, 0xc3600000
	v_mov_b32_e32 v4, 0x800000
	v_and_b32_e32 v7, 0x7fffffff, v6
	s_delay_alu instid0(VALU_DEP_1)
	v_cmpx_gt_u32_e32 0x43800000, v7
	s_cbranch_execz .LBB1_145
; %bb.140:                              ;   in Loop: Header=BB1_77 Depth=1
	v_cmp_lt_u32_e32 vcc_lo, 0x3bffffff, v7
	s_mov_b32 s12, 0
                                        ; implicit-def: $vgpr7
	s_and_saveexec_b32 s13, vcc_lo
	s_delay_alu instid0(SALU_CYCLE_1)
	s_xor_b32 s13, exec_lo, s13
	s_cbranch_execnz .LBB1_194
; %bb.141:                              ;   in Loop: Header=BB1_77 Depth=1
	s_and_not1_saveexec_b32 s13, s13
	s_cbranch_execnz .LBB1_195
.LBB1_142:                              ;   in Loop: Header=BB1_77 Depth=1
	s_or_b32 exec_lo, exec_lo, s13
	v_mov_b32_e32 v4, 0
	s_and_saveexec_b32 s13, s12
.LBB1_143:                              ;   in Loop: Header=BB1_77 Depth=1
	v_lshrrev_b32_e32 v4, 24, v6
	s_delay_alu instid0(VALU_DEP_1) | instskip(NEXT) | instid1(VALU_DEP_1)
	v_and_or_b32 v4, 0x80, v4, v7
	v_lshlrev_b32_e32 v4, 16, v4
.LBB1_144:                              ;   in Loop: Header=BB1_77 Depth=1
	s_or_b32 exec_lo, exec_lo, s13
.LBB1_145:                              ;   in Loop: Header=BB1_77 Depth=1
	s_delay_alu instid0(SALU_CYCLE_1) | instskip(SKIP_2) | instid1(VALU_DEP_1)
	s_or_b32 exec_lo, exec_lo, s9
	v_mul_f32_e32 v6, v14, v9
	s_mov_b32 s9, exec_lo
	v_mul_f32_e32 v5, v5, v6
	s_delay_alu instid0(VALU_DEP_1) | instskip(SKIP_1) | instid1(VALU_DEP_2)
	v_div_scale_f32 v6, null, v15, v15, v5
	v_div_scale_f32 v9, vcc_lo, v5, v15, v5
	v_rcp_f32_e32 v7, v6
	v_nop
	s_delay_alu instid0(TRANS32_DEP_1) | instskip(NEXT) | instid1(VALU_DEP_1)
	v_fma_f32 v8, -v6, v7, 1.0
	v_fmac_f32_e32 v7, v8, v7
	s_delay_alu instid0(VALU_DEP_1) | instskip(NEXT) | instid1(VALU_DEP_1)
	v_mul_f32_e32 v8, v9, v7
	v_fma_f32 v11, -v6, v8, v9
	s_delay_alu instid0(VALU_DEP_1) | instskip(NEXT) | instid1(VALU_DEP_1)
	v_fmac_f32_e32 v8, v11, v7
	v_fma_f32 v6, -v6, v8, v9
	s_delay_alu instid0(VALU_DEP_1) | instskip(SKIP_1) | instid1(VALU_DEP_2)
	v_div_fmas_f32 v6, v6, v7, v8
	v_bfrev_b32_e32 v7, 1
	v_div_fixup_f32 v5, v6, v15, v5
	s_delay_alu instid0(VALU_DEP_1) | instskip(NEXT) | instid1(VALU_DEP_1)
	v_minmax_num_f32 v5, v5, s5, 0xc3600000
	v_and_b32_e32 v6, 0x7fffffff, v5
	s_delay_alu instid0(VALU_DEP_1)
	v_cmpx_gt_u32_e32 0x43800000, v6
	s_cbranch_execz .LBB1_151
; %bb.146:                              ;   in Loop: Header=BB1_77 Depth=1
	v_cmp_lt_u32_e32 vcc_lo, 0x3bffffff, v6
	s_mov_b32 s12, 0
                                        ; implicit-def: $vgpr6
	s_and_saveexec_b32 s13, vcc_lo
	s_delay_alu instid0(SALU_CYCLE_1)
	s_xor_b32 s13, exec_lo, s13
	s_cbranch_execnz .LBB1_196
; %bb.147:                              ;   in Loop: Header=BB1_77 Depth=1
	s_and_not1_saveexec_b32 s13, s13
	s_cbranch_execnz .LBB1_197
.LBB1_148:                              ;   in Loop: Header=BB1_77 Depth=1
	s_or_b32 exec_lo, exec_lo, s13
	v_mov_b32_e32 v7, 0
	s_and_saveexec_b32 s13, s12
.LBB1_149:                              ;   in Loop: Header=BB1_77 Depth=1
	v_and_b32_e32 v5, 0x80000000, v5
	s_delay_alu instid0(VALU_DEP_1)
	v_lshl_or_b32 v7, v6, 24, v5
.LBB1_150:                              ;   in Loop: Header=BB1_77 Depth=1
	s_or_b32 exec_lo, exec_lo, s13
.LBB1_151:                              ;   in Loop: Header=BB1_77 Depth=1
	s_delay_alu instid0(SALU_CYCLE_1) | instskip(SKIP_4) | instid1(VALU_DEP_2)
	s_or_b32 exec_lo, exec_lo, s9
	v_dual_mov_b32 v13, v1 :: v_dual_bitop2_b32 v5, v3, v2 bitop3:0x54
	v_add_nc_u32_e32 v0, s3, v0
	s_mov_b32 s12, -1
	s_mov_b32 s9, exec_lo
	v_lshl_add_u64 v[2:3], v[12:13], 2, s[0:1]
	v_or3_b32 v4, v5, v4, v7
	global_store_b32 v[2:3], v4, off
	s_wait_xcnt 0x0
	v_cmpx_gt_u32_e64 s33, v0
	s_cbranch_execz .LBB1_74
; %bb.152:                              ;   in Loop: Header=BB1_77 Depth=1
	s_clause 0x2
	global_load_b128 v[6:9], v0, s[10:11] scale_offset
	global_load_b128 v[16:19], v0, s[16:17] scale_offset
	;; [unrolled: 1-line block ×3, first 2 shown]
	s_mov_b32 s12, exec_lo
	s_wait_loadcnt 0x1
	v_pk_add_f32 v[6:7], v[6:7], v[16:17]
	v_pk_add_f32 v[8:9], v[8:9], v[18:19]
	s_delay_alu instid0(VALU_DEP_2) | instskip(SKIP_3) | instid1(VALU_DEP_1)
	v_mul_f32_e32 v11, v14, v6
	global_store_b128 v0, v[6:9], s[16:17] scale_offset
	s_wait_loadcnt 0x0
	v_mul_f32_e32 v2, v2, v11
	v_div_scale_f32 v11, null, v15, v15, v2
	v_div_scale_f32 v16, vcc_lo, v2, v15, v2
	s_delay_alu instid0(VALU_DEP_2) | instskip(SKIP_1) | instid1(TRANS32_DEP_1)
	v_rcp_f32_e32 v12, v11
	v_nop
	v_fma_f32 v13, -v11, v12, 1.0
	s_delay_alu instid0(VALU_DEP_1) | instskip(NEXT) | instid1(VALU_DEP_1)
	v_fmac_f32_e32 v12, v13, v12
	v_mul_f32_e32 v13, v16, v12
	s_delay_alu instid0(VALU_DEP_1) | instskip(NEXT) | instid1(VALU_DEP_1)
	v_fma_f32 v17, -v11, v13, v16
	v_fmac_f32_e32 v13, v17, v12
	s_delay_alu instid0(VALU_DEP_1) | instskip(NEXT) | instid1(VALU_DEP_1)
	v_fma_f32 v11, -v11, v13, v16
	v_div_fmas_f32 v11, v11, v12, v13
	s_delay_alu instid0(VALU_DEP_1) | instskip(NEXT) | instid1(VALU_DEP_1)
	v_div_fixup_f32 v2, v11, v15, v2
	v_minmax_num_f32 v11, v2, s5, 0xc3600000
	v_mov_b32_e32 v2, 0x80
	s_delay_alu instid0(VALU_DEP_2) | instskip(SKIP_1) | instid1(VALU_DEP_1)
	v_and_b32_e32 v12, 0x7fffffff, v11
	s_wait_xcnt 0x0
	v_cmpx_gt_u32_e32 0x43800000, v12
	s_cbranch_execz .LBB1_158
; %bb.153:                              ;   in Loop: Header=BB1_77 Depth=1
	s_mov_b32 s13, 0
	s_mov_b32 s14, exec_lo
                                        ; implicit-def: $vgpr6
	v_cmpx_lt_u32_e32 0x3bffffff, v12
	s_xor_b32 s14, exec_lo, s14
	s_cbranch_execnz .LBB1_198
; %bb.154:                              ;   in Loop: Header=BB1_77 Depth=1
	s_and_not1_saveexec_b32 s14, s14
	s_cbranch_execnz .LBB1_199
.LBB1_155:                              ;   in Loop: Header=BB1_77 Depth=1
	s_or_b32 exec_lo, exec_lo, s14
	v_mov_b32_e32 v2, 0
	s_and_saveexec_b32 s14, s13
.LBB1_156:                              ;   in Loop: Header=BB1_77 Depth=1
	v_lshrrev_b32_e32 v2, 24, v11
	s_delay_alu instid0(VALU_DEP_1)
	v_and_or_b32 v2, 0x80, v2, v6
.LBB1_157:                              ;   in Loop: Header=BB1_77 Depth=1
	s_or_b32 exec_lo, exec_lo, s14
.LBB1_158:                              ;   in Loop: Header=BB1_77 Depth=1
	s_delay_alu instid0(SALU_CYCLE_1) | instskip(SKIP_2) | instid1(VALU_DEP_1)
	s_or_b32 exec_lo, exec_lo, s12
	v_mul_f32_e32 v6, v14, v7
	s_mov_b32 s12, exec_lo
	v_mul_f32_e32 v3, v3, v6
	s_delay_alu instid0(VALU_DEP_1) | instskip(SKIP_1) | instid1(VALU_DEP_2)
	v_div_scale_f32 v6, null, v15, v15, v3
	v_div_scale_f32 v12, vcc_lo, v3, v15, v3
	v_rcp_f32_e32 v7, v6
	v_nop
	s_delay_alu instid0(TRANS32_DEP_1) | instskip(NEXT) | instid1(VALU_DEP_1)
	v_fma_f32 v11, -v6, v7, 1.0
	v_fmac_f32_e32 v7, v11, v7
	s_delay_alu instid0(VALU_DEP_1) | instskip(NEXT) | instid1(VALU_DEP_1)
	v_mul_f32_e32 v11, v12, v7
	v_fma_f32 v13, -v6, v11, v12
	s_delay_alu instid0(VALU_DEP_1) | instskip(NEXT) | instid1(VALU_DEP_1)
	v_fmac_f32_e32 v11, v13, v7
	v_fma_f32 v6, -v6, v11, v12
	s_delay_alu instid0(VALU_DEP_1) | instskip(NEXT) | instid1(VALU_DEP_1)
	v_div_fmas_f32 v6, v6, v7, v11
	v_div_fixup_f32 v3, v6, v15, v3
	s_delay_alu instid0(VALU_DEP_1) | instskip(SKIP_1) | instid1(VALU_DEP_2)
	v_minmax_num_f32 v6, v3, s5, 0xc3600000
	v_mov_b32_e32 v3, 0x8000
	v_and_b32_e32 v7, 0x7fffffff, v6
	s_delay_alu instid0(VALU_DEP_1)
	v_cmpx_gt_u32_e32 0x43800000, v7
	s_cbranch_execz .LBB1_164
; %bb.159:                              ;   in Loop: Header=BB1_77 Depth=1
	v_cmp_lt_u32_e32 vcc_lo, 0x3bffffff, v7
	s_mov_b32 s13, 0
                                        ; implicit-def: $vgpr7
	s_and_saveexec_b32 s14, vcc_lo
	s_delay_alu instid0(SALU_CYCLE_1)
	s_xor_b32 s14, exec_lo, s14
	s_cbranch_execnz .LBB1_200
; %bb.160:                              ;   in Loop: Header=BB1_77 Depth=1
	s_and_not1_saveexec_b32 s14, s14
	s_cbranch_execnz .LBB1_201
.LBB1_161:                              ;   in Loop: Header=BB1_77 Depth=1
	s_or_b32 exec_lo, exec_lo, s14
	v_mov_b32_e32 v3, 0
	s_and_saveexec_b32 s14, s13
.LBB1_162:                              ;   in Loop: Header=BB1_77 Depth=1
	v_lshrrev_b32_e32 v3, 24, v6
	s_delay_alu instid0(VALU_DEP_1) | instskip(NEXT) | instid1(VALU_DEP_1)
	v_and_or_b32 v3, 0x80, v3, v7
	v_lshlrev_b32_e32 v3, 8, v3
.LBB1_163:                              ;   in Loop: Header=BB1_77 Depth=1
	s_or_b32 exec_lo, exec_lo, s14
.LBB1_164:                              ;   in Loop: Header=BB1_77 Depth=1
	s_delay_alu instid0(SALU_CYCLE_1) | instskip(SKIP_2) | instid1(VALU_DEP_1)
	s_or_b32 exec_lo, exec_lo, s12
	v_mul_f32_e32 v6, v14, v8
	s_mov_b32 s12, exec_lo
	v_mul_f32_e32 v4, v4, v6
	s_delay_alu instid0(VALU_DEP_1) | instskip(SKIP_1) | instid1(VALU_DEP_2)
	v_div_scale_f32 v6, null, v15, v15, v4
	v_div_scale_f32 v11, vcc_lo, v4, v15, v4
	v_rcp_f32_e32 v7, v6
	v_nop
	s_delay_alu instid0(TRANS32_DEP_1) | instskip(NEXT) | instid1(VALU_DEP_1)
	v_fma_f32 v8, -v6, v7, 1.0
	v_fmac_f32_e32 v7, v8, v7
	s_delay_alu instid0(VALU_DEP_1) | instskip(NEXT) | instid1(VALU_DEP_1)
	v_mul_f32_e32 v8, v11, v7
	v_fma_f32 v12, -v6, v8, v11
	s_delay_alu instid0(VALU_DEP_1) | instskip(NEXT) | instid1(VALU_DEP_1)
	v_fmac_f32_e32 v8, v12, v7
	v_fma_f32 v6, -v6, v8, v11
	s_delay_alu instid0(VALU_DEP_1) | instskip(NEXT) | instid1(VALU_DEP_1)
	v_div_fmas_f32 v6, v6, v7, v8
	v_div_fixup_f32 v4, v6, v15, v4
	s_delay_alu instid0(VALU_DEP_1) | instskip(SKIP_1) | instid1(VALU_DEP_2)
	v_minmax_num_f32 v6, v4, s5, 0xc3600000
	v_mov_b32_e32 v4, 0x800000
	v_and_b32_e32 v7, 0x7fffffff, v6
	s_delay_alu instid0(VALU_DEP_1)
	v_cmpx_gt_u32_e32 0x43800000, v7
	s_cbranch_execz .LBB1_170
; %bb.165:                              ;   in Loop: Header=BB1_77 Depth=1
	v_cmp_lt_u32_e32 vcc_lo, 0x3bffffff, v7
	s_mov_b32 s13, 0
                                        ; implicit-def: $vgpr7
	s_and_saveexec_b32 s14, vcc_lo
	s_delay_alu instid0(SALU_CYCLE_1)
	s_xor_b32 s14, exec_lo, s14
	s_cbranch_execnz .LBB1_202
; %bb.166:                              ;   in Loop: Header=BB1_77 Depth=1
	s_and_not1_saveexec_b32 s14, s14
	s_cbranch_execnz .LBB1_203
.LBB1_167:                              ;   in Loop: Header=BB1_77 Depth=1
	s_or_b32 exec_lo, exec_lo, s14
	v_mov_b32_e32 v4, 0
	s_and_saveexec_b32 s14, s13
.LBB1_168:                              ;   in Loop: Header=BB1_77 Depth=1
	v_lshrrev_b32_e32 v4, 24, v6
	s_delay_alu instid0(VALU_DEP_1) | instskip(NEXT) | instid1(VALU_DEP_1)
	v_and_or_b32 v4, 0x80, v4, v7
	v_lshlrev_b32_e32 v4, 16, v4
.LBB1_169:                              ;   in Loop: Header=BB1_77 Depth=1
	s_or_b32 exec_lo, exec_lo, s14
.LBB1_170:                              ;   in Loop: Header=BB1_77 Depth=1
	s_delay_alu instid0(SALU_CYCLE_1) | instskip(SKIP_2) | instid1(VALU_DEP_1)
	s_or_b32 exec_lo, exec_lo, s12
	v_mul_f32_e32 v6, v14, v9
	s_mov_b32 s12, exec_lo
	v_mul_f32_e32 v5, v5, v6
	s_delay_alu instid0(VALU_DEP_1) | instskip(SKIP_1) | instid1(VALU_DEP_2)
	v_div_scale_f32 v6, null, v15, v15, v5
	v_div_scale_f32 v9, vcc_lo, v5, v15, v5
	v_rcp_f32_e32 v7, v6
	v_nop
	s_delay_alu instid0(TRANS32_DEP_1) | instskip(NEXT) | instid1(VALU_DEP_1)
	v_fma_f32 v8, -v6, v7, 1.0
	v_fmac_f32_e32 v7, v8, v7
	s_delay_alu instid0(VALU_DEP_1) | instskip(NEXT) | instid1(VALU_DEP_1)
	v_mul_f32_e32 v8, v9, v7
	v_fma_f32 v11, -v6, v8, v9
	s_delay_alu instid0(VALU_DEP_1) | instskip(NEXT) | instid1(VALU_DEP_1)
	v_fmac_f32_e32 v8, v11, v7
	v_fma_f32 v6, -v6, v8, v9
	s_delay_alu instid0(VALU_DEP_1) | instskip(SKIP_1) | instid1(VALU_DEP_2)
	v_div_fmas_f32 v6, v6, v7, v8
	v_bfrev_b32_e32 v7, 1
	v_div_fixup_f32 v5, v6, v15, v5
	s_delay_alu instid0(VALU_DEP_1) | instskip(NEXT) | instid1(VALU_DEP_1)
	v_minmax_num_f32 v5, v5, s5, 0xc3600000
	v_and_b32_e32 v6, 0x7fffffff, v5
	s_delay_alu instid0(VALU_DEP_1)
	v_cmpx_gt_u32_e32 0x43800000, v6
	s_cbranch_execz .LBB1_73
; %bb.171:                              ;   in Loop: Header=BB1_77 Depth=1
	v_cmp_lt_u32_e32 vcc_lo, 0x3bffffff, v6
	s_mov_b32 s13, 0
                                        ; implicit-def: $vgpr6
	s_and_saveexec_b32 s14, vcc_lo
	s_delay_alu instid0(SALU_CYCLE_1)
	s_xor_b32 s14, exec_lo, s14
	s_cbranch_execnz .LBB1_204
; %bb.172:                              ;   in Loop: Header=BB1_77 Depth=1
	s_and_not1_saveexec_b32 s14, s14
	s_cbranch_execnz .LBB1_205
.LBB1_173:                              ;   in Loop: Header=BB1_77 Depth=1
	s_or_b32 exec_lo, exec_lo, s14
	v_mov_b32_e32 v7, 0
	s_and_saveexec_b32 s14, s13
	s_cbranch_execz .LBB1_72
	s_branch .LBB1_206
.LBB1_174:                              ;   in Loop: Header=BB1_77 Depth=1
	v_bfe_u32 v2, v10, 20, 1
	s_mov_b32 s8, exec_lo
	s_delay_alu instid0(VALU_DEP_1) | instskip(NEXT) | instid1(VALU_DEP_1)
	v_add3_u32 v2, v10, v2, 0x487ffff
	v_bfe_u32 v6, v2, 20, 8
	s_and_not1_saveexec_b32 s9, s9
	s_cbranch_execz .LBB1_80
.LBB1_175:                              ;   in Loop: Header=BB1_77 Depth=1
	v_add_f32_e64 v2, 0x46000000, |v10|
	s_and_not1_b32 s8, s8, exec_lo
	s_delay_alu instid0(VALU_DEP_1) | instskip(NEXT) | instid1(VALU_DEP_1)
	v_and_b32_e32 v6, 0xff, v2
	v_cmp_ne_u32_e32 vcc_lo, 0, v6
	s_and_b32 s12, vcc_lo, exec_lo
	s_delay_alu instid0(SALU_CYCLE_1)
	s_or_b32 s8, s8, s12
	s_or_b32 exec_lo, exec_lo, s9
	v_mov_b32_e32 v2, 0
	s_and_saveexec_b32 s9, s8
	s_cbranch_execnz .LBB1_81
	s_branch .LBB1_82
.LBB1_176:                              ;   in Loop: Header=BB1_77 Depth=1
	v_bfe_u32 v3, v6, 20, 1
	s_mov_b32 s8, exec_lo
	s_delay_alu instid0(VALU_DEP_1) | instskip(NEXT) | instid1(VALU_DEP_1)
	v_add3_u32 v3, v6, v3, 0x487ffff
	v_bfe_u32 v7, v3, 20, 8
	s_and_not1_saveexec_b32 s9, s9
	s_cbranch_execz .LBB1_86
.LBB1_177:                              ;   in Loop: Header=BB1_77 Depth=1
	v_add_f32_e64 v3, 0x46000000, |v6|
	s_and_not1_b32 s8, s8, exec_lo
	s_delay_alu instid0(VALU_DEP_1) | instskip(NEXT) | instid1(VALU_DEP_1)
	v_and_b32_e32 v7, 0xff, v3
	v_cmp_ne_u32_e32 vcc_lo, 0, v7
	s_and_b32 s12, vcc_lo, exec_lo
	s_delay_alu instid0(SALU_CYCLE_1)
	s_or_b32 s8, s8, s12
	s_or_b32 exec_lo, exec_lo, s9
	v_mov_b32_e32 v3, 0
	s_and_saveexec_b32 s9, s8
	s_cbranch_execnz .LBB1_87
	s_branch .LBB1_88
.LBB1_178:                              ;   in Loop: Header=BB1_77 Depth=1
	v_bfe_u32 v4, v6, 20, 1
	s_mov_b32 s8, exec_lo
	s_delay_alu instid0(VALU_DEP_1) | instskip(NEXT) | instid1(VALU_DEP_1)
	v_add3_u32 v4, v6, v4, 0x487ffff
	v_bfe_u32 v7, v4, 20, 8
	s_and_not1_saveexec_b32 s9, s9
	s_cbranch_execz .LBB1_92
.LBB1_179:                              ;   in Loop: Header=BB1_77 Depth=1
	v_add_f32_e64 v4, 0x46000000, |v6|
	s_and_not1_b32 s8, s8, exec_lo
	s_delay_alu instid0(VALU_DEP_1) | instskip(NEXT) | instid1(VALU_DEP_1)
	v_and_b32_e32 v7, 0xff, v4
	v_cmp_ne_u32_e32 vcc_lo, 0, v7
	s_and_b32 s12, vcc_lo, exec_lo
	s_delay_alu instid0(SALU_CYCLE_1)
	s_or_b32 s8, s8, s12
	s_or_b32 exec_lo, exec_lo, s9
	v_mov_b32_e32 v4, 0
	s_and_saveexec_b32 s9, s8
	s_cbranch_execnz .LBB1_93
	s_branch .LBB1_94
.LBB1_180:                              ;   in Loop: Header=BB1_77 Depth=1
	v_bfe_u32 v6, v5, 20, 1
	s_mov_b32 s8, exec_lo
	s_delay_alu instid0(VALU_DEP_1) | instskip(NEXT) | instid1(VALU_DEP_1)
	v_add3_u32 v6, v5, v6, 0x487ffff
	v_bfe_u32 v6, v6, 20, 8
	s_and_not1_saveexec_b32 s9, s9
	s_cbranch_execz .LBB1_98
.LBB1_181:                              ;   in Loop: Header=BB1_77 Depth=1
	v_add_f32_e64 v6, 0x46000000, |v5|
	s_and_not1_b32 s8, s8, exec_lo
	s_delay_alu instid0(VALU_DEP_1) | instskip(NEXT) | instid1(VALU_DEP_1)
	v_and_b32_e32 v6, 0xff, v6
	v_cmp_ne_u32_e32 vcc_lo, 0, v6
	s_and_b32 s12, vcc_lo, exec_lo
	s_delay_alu instid0(SALU_CYCLE_1)
	s_or_b32 s8, s8, s12
	s_or_b32 exec_lo, exec_lo, s9
	v_mov_b32_e32 v7, 0
	s_and_saveexec_b32 s9, s8
	s_cbranch_execnz .LBB1_99
	s_branch .LBB1_100
.LBB1_182:                              ;   in Loop: Header=BB1_77 Depth=1
	v_bfe_u32 v2, v11, 20, 1
	s_mov_b32 s9, exec_lo
	s_delay_alu instid0(VALU_DEP_1) | instskip(NEXT) | instid1(VALU_DEP_1)
	v_add3_u32 v2, v11, v2, 0x487ffff
	v_bfe_u32 v6, v2, 20, 8
	s_and_not1_saveexec_b32 s12, s12
	s_cbranch_execz .LBB1_105
.LBB1_183:                              ;   in Loop: Header=BB1_77 Depth=1
	v_add_f32_e64 v2, 0x46000000, |v11|
	s_and_not1_b32 s9, s9, exec_lo
	s_delay_alu instid0(VALU_DEP_1) | instskip(NEXT) | instid1(VALU_DEP_1)
	v_and_b32_e32 v6, 0xff, v2
	v_cmp_ne_u32_e32 vcc_lo, 0, v6
	s_and_b32 s13, vcc_lo, exec_lo
	s_delay_alu instid0(SALU_CYCLE_1)
	s_or_b32 s9, s9, s13
	s_or_b32 exec_lo, exec_lo, s12
	v_mov_b32_e32 v2, 0
	s_and_saveexec_b32 s12, s9
	s_cbranch_execnz .LBB1_106
	s_branch .LBB1_107
.LBB1_184:                              ;   in Loop: Header=BB1_77 Depth=1
	v_bfe_u32 v3, v6, 20, 1
	s_mov_b32 s9, exec_lo
	s_delay_alu instid0(VALU_DEP_1) | instskip(NEXT) | instid1(VALU_DEP_1)
	v_add3_u32 v3, v6, v3, 0x487ffff
	v_bfe_u32 v7, v3, 20, 8
	s_and_not1_saveexec_b32 s12, s12
	s_cbranch_execz .LBB1_111
.LBB1_185:                              ;   in Loop: Header=BB1_77 Depth=1
	v_add_f32_e64 v3, 0x46000000, |v6|
	s_and_not1_b32 s9, s9, exec_lo
	s_delay_alu instid0(VALU_DEP_1) | instskip(NEXT) | instid1(VALU_DEP_1)
	v_and_b32_e32 v7, 0xff, v3
	v_cmp_ne_u32_e32 vcc_lo, 0, v7
	s_and_b32 s13, vcc_lo, exec_lo
	s_delay_alu instid0(SALU_CYCLE_1)
	s_or_b32 s9, s9, s13
	s_or_b32 exec_lo, exec_lo, s12
	v_mov_b32_e32 v3, 0
	s_and_saveexec_b32 s12, s9
	s_cbranch_execnz .LBB1_112
	s_branch .LBB1_113
.LBB1_186:                              ;   in Loop: Header=BB1_77 Depth=1
	v_bfe_u32 v4, v6, 20, 1
	s_mov_b32 s9, exec_lo
	s_delay_alu instid0(VALU_DEP_1) | instskip(NEXT) | instid1(VALU_DEP_1)
	v_add3_u32 v4, v6, v4, 0x487ffff
	v_bfe_u32 v7, v4, 20, 8
	s_and_not1_saveexec_b32 s12, s12
	s_cbranch_execz .LBB1_117
.LBB1_187:                              ;   in Loop: Header=BB1_77 Depth=1
	v_add_f32_e64 v4, 0x46000000, |v6|
	s_and_not1_b32 s9, s9, exec_lo
	s_delay_alu instid0(VALU_DEP_1) | instskip(NEXT) | instid1(VALU_DEP_1)
	v_and_b32_e32 v7, 0xff, v4
	v_cmp_ne_u32_e32 vcc_lo, 0, v7
	s_and_b32 s13, vcc_lo, exec_lo
	s_delay_alu instid0(SALU_CYCLE_1)
	s_or_b32 s9, s9, s13
	s_or_b32 exec_lo, exec_lo, s12
	v_mov_b32_e32 v4, 0
	s_and_saveexec_b32 s12, s9
	s_cbranch_execnz .LBB1_118
	s_branch .LBB1_119
.LBB1_188:                              ;   in Loop: Header=BB1_77 Depth=1
	v_bfe_u32 v6, v5, 20, 1
	s_mov_b32 s9, exec_lo
	s_delay_alu instid0(VALU_DEP_1) | instskip(NEXT) | instid1(VALU_DEP_1)
	v_add3_u32 v6, v5, v6, 0x487ffff
	v_bfe_u32 v6, v6, 20, 8
	s_and_not1_saveexec_b32 s12, s12
	s_cbranch_execz .LBB1_123
.LBB1_189:                              ;   in Loop: Header=BB1_77 Depth=1
	v_add_f32_e64 v6, 0x46000000, |v5|
	s_and_not1_b32 s9, s9, exec_lo
	s_delay_alu instid0(VALU_DEP_1) | instskip(NEXT) | instid1(VALU_DEP_1)
	v_and_b32_e32 v6, 0xff, v6
	v_cmp_ne_u32_e32 vcc_lo, 0, v6
	s_and_b32 s13, vcc_lo, exec_lo
	s_delay_alu instid0(SALU_CYCLE_1)
	s_or_b32 s9, s9, s13
	s_or_b32 exec_lo, exec_lo, s12
	v_mov_b32_e32 v7, 0
	s_and_saveexec_b32 s12, s9
	s_cbranch_execnz .LBB1_124
	s_branch .LBB1_125
.LBB1_190:                              ;   in Loop: Header=BB1_77 Depth=1
	v_bfe_u32 v2, v11, 20, 1
	s_mov_b32 s12, exec_lo
	s_delay_alu instid0(VALU_DEP_1) | instskip(NEXT) | instid1(VALU_DEP_1)
	v_add3_u32 v2, v11, v2, 0x487ffff
	v_bfe_u32 v6, v2, 20, 8
	s_and_not1_saveexec_b32 s13, s13
	s_cbranch_execz .LBB1_130
.LBB1_191:                              ;   in Loop: Header=BB1_77 Depth=1
	v_add_f32_e64 v2, 0x46000000, |v11|
	s_and_not1_b32 s12, s12, exec_lo
	s_delay_alu instid0(VALU_DEP_1) | instskip(NEXT) | instid1(VALU_DEP_1)
	v_and_b32_e32 v6, 0xff, v2
	v_cmp_ne_u32_e32 vcc_lo, 0, v6
	s_and_b32 s14, vcc_lo, exec_lo
	s_delay_alu instid0(SALU_CYCLE_1)
	s_or_b32 s12, s12, s14
	s_or_b32 exec_lo, exec_lo, s13
	v_mov_b32_e32 v2, 0
	s_and_saveexec_b32 s13, s12
	s_cbranch_execnz .LBB1_131
	s_branch .LBB1_132
.LBB1_192:                              ;   in Loop: Header=BB1_77 Depth=1
	v_bfe_u32 v3, v6, 20, 1
	s_mov_b32 s12, exec_lo
	s_delay_alu instid0(VALU_DEP_1) | instskip(NEXT) | instid1(VALU_DEP_1)
	v_add3_u32 v3, v6, v3, 0x487ffff
	v_bfe_u32 v7, v3, 20, 8
	s_and_not1_saveexec_b32 s13, s13
	s_cbranch_execz .LBB1_136
.LBB1_193:                              ;   in Loop: Header=BB1_77 Depth=1
	v_add_f32_e64 v3, 0x46000000, |v6|
	s_and_not1_b32 s12, s12, exec_lo
	s_delay_alu instid0(VALU_DEP_1) | instskip(NEXT) | instid1(VALU_DEP_1)
	v_and_b32_e32 v7, 0xff, v3
	v_cmp_ne_u32_e32 vcc_lo, 0, v7
	s_and_b32 s14, vcc_lo, exec_lo
	s_delay_alu instid0(SALU_CYCLE_1)
	s_or_b32 s12, s12, s14
	s_or_b32 exec_lo, exec_lo, s13
	v_mov_b32_e32 v3, 0
	s_and_saveexec_b32 s13, s12
	s_cbranch_execnz .LBB1_137
	s_branch .LBB1_138
.LBB1_194:                              ;   in Loop: Header=BB1_77 Depth=1
	v_bfe_u32 v4, v6, 20, 1
	s_mov_b32 s12, exec_lo
	s_delay_alu instid0(VALU_DEP_1) | instskip(NEXT) | instid1(VALU_DEP_1)
	v_add3_u32 v4, v6, v4, 0x487ffff
	v_bfe_u32 v7, v4, 20, 8
	s_and_not1_saveexec_b32 s13, s13
	s_cbranch_execz .LBB1_142
.LBB1_195:                              ;   in Loop: Header=BB1_77 Depth=1
	v_add_f32_e64 v4, 0x46000000, |v6|
	s_and_not1_b32 s12, s12, exec_lo
	s_delay_alu instid0(VALU_DEP_1) | instskip(NEXT) | instid1(VALU_DEP_1)
	v_and_b32_e32 v7, 0xff, v4
	v_cmp_ne_u32_e32 vcc_lo, 0, v7
	s_and_b32 s14, vcc_lo, exec_lo
	s_delay_alu instid0(SALU_CYCLE_1)
	s_or_b32 s12, s12, s14
	s_or_b32 exec_lo, exec_lo, s13
	v_mov_b32_e32 v4, 0
	s_and_saveexec_b32 s13, s12
	s_cbranch_execnz .LBB1_143
	s_branch .LBB1_144
.LBB1_196:                              ;   in Loop: Header=BB1_77 Depth=1
	v_bfe_u32 v6, v5, 20, 1
	s_mov_b32 s12, exec_lo
	s_delay_alu instid0(VALU_DEP_1) | instskip(NEXT) | instid1(VALU_DEP_1)
	v_add3_u32 v6, v5, v6, 0x487ffff
	v_bfe_u32 v6, v6, 20, 8
	s_and_not1_saveexec_b32 s13, s13
	s_cbranch_execz .LBB1_148
.LBB1_197:                              ;   in Loop: Header=BB1_77 Depth=1
	v_add_f32_e64 v6, 0x46000000, |v5|
	s_and_not1_b32 s12, s12, exec_lo
	s_delay_alu instid0(VALU_DEP_1) | instskip(NEXT) | instid1(VALU_DEP_1)
	v_and_b32_e32 v6, 0xff, v6
	v_cmp_ne_u32_e32 vcc_lo, 0, v6
	s_and_b32 s14, vcc_lo, exec_lo
	s_delay_alu instid0(SALU_CYCLE_1)
	s_or_b32 s12, s12, s14
	s_or_b32 exec_lo, exec_lo, s13
	v_mov_b32_e32 v7, 0
	s_and_saveexec_b32 s13, s12
	s_cbranch_execnz .LBB1_149
	s_branch .LBB1_150
.LBB1_198:                              ;   in Loop: Header=BB1_77 Depth=1
	v_bfe_u32 v2, v11, 20, 1
	s_mov_b32 s13, exec_lo
	s_delay_alu instid0(VALU_DEP_1) | instskip(NEXT) | instid1(VALU_DEP_1)
	v_add3_u32 v2, v11, v2, 0x487ffff
	v_bfe_u32 v6, v2, 20, 8
	s_and_not1_saveexec_b32 s14, s14
	s_cbranch_execz .LBB1_155
.LBB1_199:                              ;   in Loop: Header=BB1_77 Depth=1
	v_add_f32_e64 v2, 0x46000000, |v11|
	s_and_not1_b32 s13, s13, exec_lo
	s_delay_alu instid0(VALU_DEP_1) | instskip(NEXT) | instid1(VALU_DEP_1)
	v_and_b32_e32 v6, 0xff, v2
	v_cmp_ne_u32_e32 vcc_lo, 0, v6
	s_and_b32 s15, vcc_lo, exec_lo
	s_delay_alu instid0(SALU_CYCLE_1)
	s_or_b32 s13, s13, s15
	s_or_b32 exec_lo, exec_lo, s14
	v_mov_b32_e32 v2, 0
	s_and_saveexec_b32 s14, s13
	s_cbranch_execnz .LBB1_156
	s_branch .LBB1_157
.LBB1_200:                              ;   in Loop: Header=BB1_77 Depth=1
	v_bfe_u32 v3, v6, 20, 1
	s_mov_b32 s13, exec_lo
	s_delay_alu instid0(VALU_DEP_1) | instskip(NEXT) | instid1(VALU_DEP_1)
	v_add3_u32 v3, v6, v3, 0x487ffff
	v_bfe_u32 v7, v3, 20, 8
	s_and_not1_saveexec_b32 s14, s14
	s_cbranch_execz .LBB1_161
.LBB1_201:                              ;   in Loop: Header=BB1_77 Depth=1
	v_add_f32_e64 v3, 0x46000000, |v6|
	s_and_not1_b32 s13, s13, exec_lo
	s_delay_alu instid0(VALU_DEP_1) | instskip(NEXT) | instid1(VALU_DEP_1)
	v_and_b32_e32 v7, 0xff, v3
	v_cmp_ne_u32_e32 vcc_lo, 0, v7
	s_and_b32 s15, vcc_lo, exec_lo
	s_delay_alu instid0(SALU_CYCLE_1)
	s_or_b32 s13, s13, s15
	s_or_b32 exec_lo, exec_lo, s14
	v_mov_b32_e32 v3, 0
	s_and_saveexec_b32 s14, s13
	s_cbranch_execnz .LBB1_162
	s_branch .LBB1_163
.LBB1_202:                              ;   in Loop: Header=BB1_77 Depth=1
	v_bfe_u32 v4, v6, 20, 1
	s_mov_b32 s13, exec_lo
	s_delay_alu instid0(VALU_DEP_1) | instskip(NEXT) | instid1(VALU_DEP_1)
	v_add3_u32 v4, v6, v4, 0x487ffff
	v_bfe_u32 v7, v4, 20, 8
	s_and_not1_saveexec_b32 s14, s14
	s_cbranch_execz .LBB1_167
.LBB1_203:                              ;   in Loop: Header=BB1_77 Depth=1
	v_add_f32_e64 v4, 0x46000000, |v6|
	s_and_not1_b32 s13, s13, exec_lo
	s_delay_alu instid0(VALU_DEP_1) | instskip(NEXT) | instid1(VALU_DEP_1)
	v_and_b32_e32 v7, 0xff, v4
	v_cmp_ne_u32_e32 vcc_lo, 0, v7
	s_and_b32 s15, vcc_lo, exec_lo
	s_delay_alu instid0(SALU_CYCLE_1)
	s_or_b32 s13, s13, s15
	s_or_b32 exec_lo, exec_lo, s14
	v_mov_b32_e32 v4, 0
	s_and_saveexec_b32 s14, s13
	s_cbranch_execnz .LBB1_168
	s_branch .LBB1_169
.LBB1_204:                              ;   in Loop: Header=BB1_77 Depth=1
	v_bfe_u32 v6, v5, 20, 1
	s_mov_b32 s13, exec_lo
	s_delay_alu instid0(VALU_DEP_1) | instskip(NEXT) | instid1(VALU_DEP_1)
	v_add3_u32 v6, v5, v6, 0x487ffff
	v_bfe_u32 v6, v6, 20, 8
	s_and_not1_saveexec_b32 s14, s14
	s_cbranch_execz .LBB1_173
.LBB1_205:                              ;   in Loop: Header=BB1_77 Depth=1
	v_add_f32_e64 v6, 0x46000000, |v5|
	s_and_not1_b32 s13, s13, exec_lo
	s_delay_alu instid0(VALU_DEP_1) | instskip(NEXT) | instid1(VALU_DEP_1)
	v_and_b32_e32 v6, 0xff, v6
	v_cmp_ne_u32_e32 vcc_lo, 0, v6
	s_and_b32 s15, vcc_lo, exec_lo
	s_delay_alu instid0(SALU_CYCLE_1)
	s_or_b32 s13, s13, s15
	s_or_b32 exec_lo, exec_lo, s14
	v_mov_b32_e32 v7, 0
	s_and_saveexec_b32 s14, s13
	s_cbranch_execz .LBB1_72
.LBB1_206:                              ;   in Loop: Header=BB1_77 Depth=1
	v_and_b32_e32 v5, 0x80000000, v5
	s_delay_alu instid0(VALU_DEP_1)
	v_lshl_or_b32 v7, v6, 24, v5
	s_branch .LBB1_72
.LBB1_207:
	s_endpgm
	.section	.rodata,"a",@progbits
	.p2align	6, 0x0
	.amdhsa_kernel _ZN4vllm39rms_norm_dynamic_per_token_quant_kernelIfN3c1015Float8_e4m3fnuzELb1EEEvPT0_PfPKT_S8_PKffiPS6_
		.amdhsa_group_segment_fixed_size 272
		.amdhsa_private_segment_fixed_size 0
		.amdhsa_kernarg_size 312
		.amdhsa_user_sgpr_count 2
		.amdhsa_user_sgpr_dispatch_ptr 0
		.amdhsa_user_sgpr_queue_ptr 0
		.amdhsa_user_sgpr_kernarg_segment_ptr 1
		.amdhsa_user_sgpr_dispatch_id 0
		.amdhsa_user_sgpr_kernarg_preload_length 0
		.amdhsa_user_sgpr_kernarg_preload_offset 0
		.amdhsa_user_sgpr_private_segment_size 0
		.amdhsa_wavefront_size32 1
		.amdhsa_uses_dynamic_stack 0
		.amdhsa_enable_private_segment 0
		.amdhsa_system_sgpr_workgroup_id_x 1
		.amdhsa_system_sgpr_workgroup_id_y 0
		.amdhsa_system_sgpr_workgroup_id_z 0
		.amdhsa_system_sgpr_workgroup_info 0
		.amdhsa_system_vgpr_workitem_id 0
		.amdhsa_next_free_vgpr 28
		.amdhsa_next_free_sgpr 40
		.amdhsa_named_barrier_count 0
		.amdhsa_reserve_vcc 1
		.amdhsa_float_round_mode_32 0
		.amdhsa_float_round_mode_16_64 0
		.amdhsa_float_denorm_mode_32 3
		.amdhsa_float_denorm_mode_16_64 3
		.amdhsa_fp16_overflow 0
		.amdhsa_memory_ordered 1
		.amdhsa_forward_progress 1
		.amdhsa_inst_pref_size 95
		.amdhsa_round_robin_scheduling 0
		.amdhsa_exception_fp_ieee_invalid_op 0
		.amdhsa_exception_fp_denorm_src 0
		.amdhsa_exception_fp_ieee_div_zero 0
		.amdhsa_exception_fp_ieee_overflow 0
		.amdhsa_exception_fp_ieee_underflow 0
		.amdhsa_exception_fp_ieee_inexact 0
		.amdhsa_exception_int_div_zero 0
	.end_amdhsa_kernel
	.section	.text._ZN4vllm39rms_norm_dynamic_per_token_quant_kernelIfN3c1015Float8_e4m3fnuzELb1EEEvPT0_PfPKT_S8_PKffiPS6_,"axG",@progbits,_ZN4vllm39rms_norm_dynamic_per_token_quant_kernelIfN3c1015Float8_e4m3fnuzELb1EEEvPT0_PfPKT_S8_PKffiPS6_,comdat
.Lfunc_end1:
	.size	_ZN4vllm39rms_norm_dynamic_per_token_quant_kernelIfN3c1015Float8_e4m3fnuzELb1EEEvPT0_PfPKT_S8_PKffiPS6_, .Lfunc_end1-_ZN4vllm39rms_norm_dynamic_per_token_quant_kernelIfN3c1015Float8_e4m3fnuzELb1EEEvPT0_PfPKT_S8_PKffiPS6_
                                        ; -- End function
	.set _ZN4vllm39rms_norm_dynamic_per_token_quant_kernelIfN3c1015Float8_e4m3fnuzELb1EEEvPT0_PfPKT_S8_PKffiPS6_.num_vgpr, 28
	.set _ZN4vllm39rms_norm_dynamic_per_token_quant_kernelIfN3c1015Float8_e4m3fnuzELb1EEEvPT0_PfPKT_S8_PKffiPS6_.num_agpr, 0
	.set _ZN4vllm39rms_norm_dynamic_per_token_quant_kernelIfN3c1015Float8_e4m3fnuzELb1EEEvPT0_PfPKT_S8_PKffiPS6_.numbered_sgpr, 40
	.set _ZN4vllm39rms_norm_dynamic_per_token_quant_kernelIfN3c1015Float8_e4m3fnuzELb1EEEvPT0_PfPKT_S8_PKffiPS6_.num_named_barrier, 0
	.set _ZN4vllm39rms_norm_dynamic_per_token_quant_kernelIfN3c1015Float8_e4m3fnuzELb1EEEvPT0_PfPKT_S8_PKffiPS6_.private_seg_size, 0
	.set _ZN4vllm39rms_norm_dynamic_per_token_quant_kernelIfN3c1015Float8_e4m3fnuzELb1EEEvPT0_PfPKT_S8_PKffiPS6_.uses_vcc, 1
	.set _ZN4vllm39rms_norm_dynamic_per_token_quant_kernelIfN3c1015Float8_e4m3fnuzELb1EEEvPT0_PfPKT_S8_PKffiPS6_.uses_flat_scratch, 0
	.set _ZN4vllm39rms_norm_dynamic_per_token_quant_kernelIfN3c1015Float8_e4m3fnuzELb1EEEvPT0_PfPKT_S8_PKffiPS6_.has_dyn_sized_stack, 0
	.set _ZN4vllm39rms_norm_dynamic_per_token_quant_kernelIfN3c1015Float8_e4m3fnuzELb1EEEvPT0_PfPKT_S8_PKffiPS6_.has_recursion, 0
	.set _ZN4vllm39rms_norm_dynamic_per_token_quant_kernelIfN3c1015Float8_e4m3fnuzELb1EEEvPT0_PfPKT_S8_PKffiPS6_.has_indirect_call, 0
	.section	.AMDGPU.csdata,"",@progbits
; Kernel info:
; codeLenInByte = 12116
; TotalNumSgprs: 42
; NumVgprs: 28
; ScratchSize: 0
; MemoryBound: 0
; FloatMode: 240
; IeeeMode: 1
; LDSByteSize: 272 bytes/workgroup (compile time only)
; SGPRBlocks: 0
; VGPRBlocks: 1
; NumSGPRsForWavesPerEU: 42
; NumVGPRsForWavesPerEU: 28
; NamedBarCnt: 0
; Occupancy: 16
; WaveLimiterHint : 0
; COMPUTE_PGM_RSRC2:SCRATCH_EN: 0
; COMPUTE_PGM_RSRC2:USER_SGPR: 2
; COMPUTE_PGM_RSRC2:TRAP_HANDLER: 0
; COMPUTE_PGM_RSRC2:TGID_X_EN: 1
; COMPUTE_PGM_RSRC2:TGID_Y_EN: 0
; COMPUTE_PGM_RSRC2:TGID_Z_EN: 0
; COMPUTE_PGM_RSRC2:TIDIG_COMP_CNT: 0
	.section	.text._ZN4vllm39rms_norm_dynamic_per_token_quant_kernelIfaLb1EEEvPT0_PfPKT_S6_PKffiPS4_,"axG",@progbits,_ZN4vllm39rms_norm_dynamic_per_token_quant_kernelIfaLb1EEEvPT0_PfPKT_S6_PKffiPS4_,comdat
	.protected	_ZN4vllm39rms_norm_dynamic_per_token_quant_kernelIfaLb1EEEvPT0_PfPKT_S6_PKffiPS4_ ; -- Begin function _ZN4vllm39rms_norm_dynamic_per_token_quant_kernelIfaLb1EEEvPT0_PfPKT_S6_PKffiPS4_
	.globl	_ZN4vllm39rms_norm_dynamic_per_token_quant_kernelIfaLb1EEEvPT0_PfPKT_S6_PKffiPS4_
	.p2align	8
	.type	_ZN4vllm39rms_norm_dynamic_per_token_quant_kernelIfaLb1EEEvPT0_PfPKT_S6_PKffiPS4_,@function
_ZN4vllm39rms_norm_dynamic_per_token_quant_kernelIfaLb1EEEvPT0_PfPKT_S6_PKffiPS4_: ; @_ZN4vllm39rms_norm_dynamic_per_token_quant_kernelIfaLb1EEEvPT0_PfPKT_S6_PKffiPS4_
; %bb.0:
	s_clause 0x2
	s_load_b128 s[20:23], s[0:1], 0x20
	s_load_b256 s[12:19], s[0:1], 0x0
	s_load_b64 s[30:31], s[0:1], 0x30
	s_mov_b32 s29, 0
	s_getreg_b32 s33, hwreg(HW_REG_IB_STS2, 6, 4)
	s_add_nc_u64 s[24:25], s[0:1], 56
	s_wait_kmcnt 0x0
	s_and_b32 s2, s23, 3
	s_delay_alu instid0(SALU_CYCLE_1)
	s_cmp_lg_u32 s2, 0
	s_cbranch_scc0 .LBB2_27
; %bb.1:
	s_load_b32 s34, s[0:1], 0x38
	s_bfe_u32 s2, ttmp6, 0x4000c
	s_and_b32 s3, ttmp6, 15
	s_add_co_i32 s2, s2, 1
	v_mov_b32_e32 v4, 0
	s_mul_i32 s2, ttmp9, s2
	s_mov_b32 s4, s23
	s_add_co_i32 s3, s3, s2
	s_cmp_eq_u32 s33, 0
	v_cmp_gt_u32_e64 s2, s23, v0
	s_cselect_b32 s28, ttmp9, s3
	s_ashr_i32 s5, s23, 31
	s_delay_alu instid0(SALU_CYCLE_1)
	s_mul_u64 s[26:27], s[4:5], s[28:29]
	s_and_saveexec_b32 s3, s2
	s_cbranch_execz .LBB2_5
; %bb.2:
	s_wait_kmcnt 0x0
	s_cmp_lt_u32 s28, s34
	s_mov_b32 s5, 0
	s_cselect_b32 s4, 12, 18
	v_dual_mov_b32 v3, 0 :: v_dual_mov_b32 v4, 0
	s_add_nc_u64 s[6:7], s[24:25], s[4:5]
	v_mov_b32_e32 v2, v0
	s_load_u16 s4, s[6:7], 0x0
.LBB2_3:                                ; =>This Inner Loop Header: Depth=1
	s_delay_alu instid0(VALU_DEP_1) | instskip(NEXT) | instid1(VALU_DEP_1)
	v_add_nc_u64_e32 v[6:7], s[26:27], v[2:3]
	v_lshlrev_b64_e32 v[6:7], 2, v[6:7]
	s_delay_alu instid0(VALU_DEP_1)
	v_add_nc_u64_e32 v[8:9], s[16:17], v[6:7]
	v_add_nc_u64_e32 v[6:7], s[30:31], v[6:7]
	global_load_b32 v1, v[8:9], off
	global_load_b32 v5, v[6:7], off
	s_wait_loadcnt 0x0
	s_wait_kmcnt 0x0
	v_dual_add_f32 v1, v1, v5 :: v_dual_add_nc_u32 v2, s4, v2
	s_delay_alu instid0(VALU_DEP_1) | instskip(NEXT) | instid1(VALU_DEP_2)
	v_cmp_le_u32_e32 vcc_lo, s23, v2
	v_fmac_f32_e32 v4, v1, v1
	s_or_b32 s5, vcc_lo, s5
	s_delay_alu instid0(SALU_CYCLE_1)
	s_and_not1_b32 exec_lo, exec_lo, s5
	s_cbranch_execnz .LBB2_3
; %bb.4:
	s_or_b32 exec_lo, exec_lo, s5
.LBB2_5:
	s_delay_alu instid0(SALU_CYCLE_1) | instskip(SKIP_3) | instid1(VALU_DEP_2)
	s_or_b32 exec_lo, exec_lo, s3
	v_mbcnt_lo_u32_b32 v1, -1, 0
	s_load_b32 s3, s[24:25], 0xc
	v_and_b32_e32 v3, 0x3c0, v0
	v_cmp_ne_u32_e32 vcc_lo, 63, v1
	v_cmp_eq_u32_e64 s8, 0, v1
	v_dual_add_nc_u32 v5, 1, v1 :: v_dual_lshlrev_b32 v8, 2, v1
	v_add_co_ci_u32_e64 v2, null, 0, v1, vcc_lo
	v_cmp_gt_u32_e32 vcc_lo, 62, v1
	s_delay_alu instid0(VALU_DEP_2)
	v_lshlrev_b32_e32 v7, 2, v2
	v_cndmask_b32_e64 v6, 0, 2, vcc_lo
	v_cmp_gt_u32_e32 vcc_lo, 60, v1
	ds_bpermute_b32 v2, v7, v4
	s_wait_kmcnt 0x0
	s_and_b32 s36, s3, 0xffff
	v_add_lshl_u32 v9, v6, v1, 2
	v_sub_nc_u32_e64 v3, s36, v3 clamp
	v_add_nc_u32_e32 v6, 2, v1
	s_delay_alu instid0(VALU_DEP_2) | instskip(NEXT) | instid1(VALU_DEP_2)
	v_cmp_lt_u32_e64 s3, v5, v3
	v_cmp_lt_u32_e64 s4, v6, v3
	v_add_nc_u32_e32 v6, 4, v1
	v_cndmask_b32_e64 v5, 0, 4, vcc_lo
	v_cmp_gt_u32_e32 vcc_lo, 56, v1
	s_delay_alu instid0(VALU_DEP_3) | instskip(NEXT) | instid1(VALU_DEP_3)
	v_cmp_lt_u32_e64 s5, v6, v3
	v_add_lshl_u32 v10, v5, v1, 2
	v_cndmask_b32_e64 v5, 0, 8, vcc_lo
	v_cmp_gt_u32_e32 vcc_lo, 48, v1
	s_wait_dscnt 0x0
	v_dual_add_nc_u32 v6, 8, v1 :: v_dual_add_f32 v2, v4, v2
	s_delay_alu instid0(VALU_DEP_3) | instskip(SKIP_1) | instid1(VALU_DEP_3)
	v_add_lshl_u32 v11, v5, v1, 2
	v_cndmask_b32_e64 v5, 0, 16, vcc_lo
	v_cmp_lt_u32_e64 s6, v6, v3
	s_delay_alu instid0(VALU_DEP_4) | instskip(NEXT) | instid1(VALU_DEP_3)
	v_cndmask_b32_e64 v2, v4, v2, s3
	v_add_lshl_u32 v12, v5, v1, 2
	v_add_nc_u32_e32 v5, 16, v1
	ds_bpermute_b32 v4, v9, v2
	v_cmp_lt_u32_e64 s7, v5, v3
	v_or_b32_e32 v5, 32, v1
	s_delay_alu instid0(VALU_DEP_1) | instskip(SKIP_2) | instid1(VALU_DEP_1)
	v_cmp_lt_u32_e64 s10, v5, v3
	s_wait_dscnt 0x0
	v_add_f32_e32 v4, v2, v4
	v_cndmask_b32_e64 v2, v2, v4, s4
	ds_bpermute_b32 v4, v10, v2
	s_wait_dscnt 0x0
	v_add_f32_e32 v4, v2, v4
	s_delay_alu instid0(VALU_DEP_1) | instskip(SKIP_3) | instid1(VALU_DEP_1)
	v_cndmask_b32_e64 v2, v2, v4, s5
	ds_bpermute_b32 v4, v11, v2
	s_wait_dscnt 0x0
	v_add_f32_e32 v4, v2, v4
	v_cndmask_b32_e64 v2, v2, v4, s6
	ds_bpermute_b32 v4, v12, v2
	s_wait_dscnt 0x0
	v_add_f32_e32 v4, v2, v4
	s_delay_alu instid0(VALU_DEP_1) | instskip(SKIP_3) | instid1(VALU_DEP_1)
	v_cndmask_b32_e64 v2, v2, v4, s7
	ds_bpermute_b32 v4, v8, v2 offset:128
	s_wait_dscnt 0x0
	v_add_f32_e32 v4, v2, v4
	v_cndmask_b32_e64 v2, v2, v4, s10
	s_and_saveexec_b32 s9, s8
; %bb.6:
	v_lshrrev_b32_e32 v3, 4, v0
	s_delay_alu instid0(VALU_DEP_1)
	v_and_b32_e32 v3, 60, v3
	ds_store_b32 v3, v2 offset:128
; %bb.7:
	s_or_b32 exec_lo, exec_lo, s9
	v_cmp_gt_u32_e64 s9, 16, v0
	v_and_b32_e32 v5, 15, v1
	v_or_b32_e32 v6, 32, v8
	s_wait_dscnt 0x0
	s_barrier_signal -1
	s_barrier_wait -1
	s_and_saveexec_b32 s35, s9
	s_cbranch_execz .LBB2_9
; %bb.8:
	ds_load_b32 v2, v8 offset:128
	v_cmp_ne_u32_e32 vcc_lo, 15, v5
	s_add_co_i32 s11, s36, 63
	v_add_nc_u32_e32 v13, 1, v5
	s_lshr_b32 s37, s11, 6
	v_cmp_gt_u32_e64 s11, 12, v5
	v_add_co_ci_u32_e64 v3, null, 0, v1, vcc_lo
	v_cmp_gt_u32_e32 vcc_lo, 14, v5
	s_delay_alu instid0(VALU_DEP_3) | instskip(NEXT) | instid1(VALU_DEP_3)
	v_cndmask_b32_e64 v14, 0, 4, s11
	v_lshlrev_b32_e32 v3, 2, v3
	v_cndmask_b32_e64 v4, 0, 2, vcc_lo
	v_cmp_gt_u32_e32 vcc_lo, s37, v13
	v_add_nc_u32_e32 v13, 2, v5
	s_delay_alu instid0(VALU_DEP_3)
	v_add_lshl_u32 v4, v4, v1, 2
	s_wait_dscnt 0x0
	ds_bpermute_b32 v3, v3, v2
	v_cmp_gt_u32_e64 s11, s37, v13
	s_wait_dscnt 0x0
	v_dual_add_nc_u32 v13, 4, v5 :: v_dual_add_f32 v3, v2, v3
	s_delay_alu instid0(VALU_DEP_1) | instskip(SKIP_3) | instid1(VALU_DEP_1)
	v_cndmask_b32_e32 v3, v2, v3, vcc_lo
	ds_bpermute_b32 v4, v4, v3
	s_wait_dscnt 0x0
	v_add_f32_e32 v4, v3, v4
	v_cndmask_b32_e64 v3, v3, v4, s11
	v_add_lshl_u32 v4, v14, v1, 2
	v_cmp_gt_u32_e64 s11, s37, v13
	v_add_nc_u32_e32 v13, 8, v5
	ds_bpermute_b32 v4, v4, v3
	s_wait_dscnt 0x0
	v_add_f32_e32 v4, v3, v4
	s_delay_alu instid0(VALU_DEP_1) | instskip(SKIP_4) | instid1(VALU_DEP_1)
	v_cndmask_b32_e64 v3, v3, v4, s11
	v_cmp_gt_u32_e64 s11, s37, v13
	ds_bpermute_b32 v4, v6, v3
	s_wait_dscnt 0x0
	v_add_f32_e32 v4, v3, v4
	v_cndmask_b32_e64 v3, v3, v4, s11
	s_delay_alu instid0(VALU_DEP_1)
	v_cndmask_b32_e32 v2, v2, v3, vcc_lo
.LBB2_9:
	s_or_b32 exec_lo, exec_lo, s35
	v_cmp_eq_u32_e64 s11, 0, v0
	s_and_saveexec_b32 s35, s11
	s_cbranch_execz .LBB2_11
; %bb.10:
	s_cvt_f32_i32 s37, s23
	s_delay_alu instid0(SALU_CYCLE_3) | instskip(SKIP_1) | instid1(VALU_DEP_2)
	v_div_scale_f32 v3, null, s37, s37, v2
	v_div_scale_f32 v14, vcc_lo, v2, s37, v2
	v_rcp_f32_e32 v4, v3
	v_nop
	s_delay_alu instid0(TRANS32_DEP_1) | instskip(NEXT) | instid1(VALU_DEP_1)
	v_fma_f32 v13, -v3, v4, 1.0
	v_fmac_f32_e32 v4, v13, v4
	s_delay_alu instid0(VALU_DEP_1) | instskip(NEXT) | instid1(VALU_DEP_1)
	v_mul_f32_e32 v13, v14, v4
	v_fma_f32 v15, -v3, v13, v14
	s_delay_alu instid0(VALU_DEP_1) | instskip(NEXT) | instid1(VALU_DEP_1)
	v_fmac_f32_e32 v13, v15, v4
	v_fma_f32 v3, -v3, v13, v14
	s_delay_alu instid0(VALU_DEP_1) | instskip(NEXT) | instid1(VALU_DEP_1)
	v_div_fmas_f32 v3, v3, v4, v13
	v_div_fixup_f32 v2, v3, s37, v2
	s_delay_alu instid0(VALU_DEP_1) | instskip(NEXT) | instid1(VALU_DEP_1)
	v_add_f32_e32 v2, s22, v2
	v_mul_f32_e32 v3, 0x4b800000, v2
	v_cmp_gt_f32_e32 vcc_lo, 0x800000, v2
	s_delay_alu instid0(VALU_DEP_2) | instskip(NEXT) | instid1(VALU_DEP_1)
	v_cndmask_b32_e32 v2, v2, v3, vcc_lo
	v_rsq_f32_e32 v2, v2
	v_nop
	s_delay_alu instid0(TRANS32_DEP_1) | instskip(NEXT) | instid1(VALU_DEP_1)
	v_mul_f32_e32 v3, 0x45800000, v2
	v_dual_cndmask_b32 v2, v2, v3 :: v_dual_mov_b32 v3, 0
	ds_store_b32 v3, v2 offset:264
.LBB2_11:
	s_or_b32 exec_lo, exec_lo, s35
	v_mov_b32_e32 v13, 0
	s_wait_dscnt 0x0
	s_barrier_signal -1
	s_barrier_wait -1
	ds_load_b32 v4, v13 offset:264
	s_and_saveexec_b32 s37, s2
	s_cbranch_execz .LBB2_15
; %bb.12:
	s_cmp_lt_u32 s28, s34
	s_mov_b32 s35, 0
	s_cselect_b32 s34, 12, 18
	v_dual_mov_b32 v3, 0 :: v_dual_mov_b32 v13, 0
	s_add_nc_u64 s[38:39], s[24:25], s[34:35]
	v_mov_b32_e32 v2, v0
	s_load_u16 s34, s[38:39], 0x0
.LBB2_13:                               ; =>This Inner Loop Header: Depth=1
	s_delay_alu instid0(VALU_DEP_1) | instskip(NEXT) | instid1(VALU_DEP_2)
	v_add_nc_u64_e32 v[14:15], s[26:27], v[2:3]
	v_max_num_f32_e32 v13, v13, v13
	s_delay_alu instid0(VALU_DEP_2) | instskip(NEXT) | instid1(VALU_DEP_1)
	v_lshlrev_b64_e32 v[14:15], 2, v[14:15]
	v_add_nc_u64_e32 v[16:17], s[16:17], v[14:15]
	v_add_nc_u64_e32 v[14:15], s[30:31], v[14:15]
	global_load_b32 v18, v[16:17], off
	global_load_b32 v19, v[14:15], off
	global_load_b32 v20, v2, s[18:19] scale_offset
	s_wait_kmcnt 0x0
	v_add_nc_u32_e32 v2, s34, v2
	s_delay_alu instid0(VALU_DEP_1) | instskip(SKIP_4) | instid1(VALU_DEP_1)
	v_cmp_le_u32_e32 vcc_lo, s23, v2
	s_or_b32 s35, vcc_lo, s35
	s_wait_loadcnt 0x1
	v_add_f32_e32 v14, v18, v19
	s_wait_dscnt 0x0
	v_mul_f32_e32 v14, v4, v14
	s_wait_loadcnt 0x0
	s_delay_alu instid0(VALU_DEP_1) | instskip(NEXT) | instid1(VALU_DEP_1)
	v_mul_f32_e32 v14, v20, v14
	v_max_num_f32_e64 v13, v13, |v14|
	s_and_not1_b32 exec_lo, exec_lo, s35
	s_cbranch_execnz .LBB2_13
; %bb.14:
	s_or_b32 exec_lo, exec_lo, s35
.LBB2_15:
	s_delay_alu instid0(SALU_CYCLE_1)
	s_or_b32 exec_lo, exec_lo, s37
	ds_bpermute_b32 v3, v7, v13
	v_or_b32_e32 v2, 0x80, v8
	s_wait_dscnt 0x0
	v_cmp_lt_f32_e32 vcc_lo, v13, v3
	v_cndmask_b32_e32 v3, v13, v3, vcc_lo
	s_delay_alu instid0(VALU_DEP_1) | instskip(SKIP_1) | instid1(SALU_CYCLE_1)
	v_cndmask_b32_e64 v3, v13, v3, s3
	s_or_b32 s3, s3, s4
	s_or_b32 s3, s5, s3
	s_delay_alu instid0(SALU_CYCLE_1)
	s_or_b32 s3, s6, s3
	ds_bpermute_b32 v7, v9, v3
	s_or_b32 s3, s7, s3
	s_wait_dscnt 0x0
	v_cmp_lt_f32_e32 vcc_lo, v3, v7
	v_cndmask_b32_e32 v7, v3, v7, vcc_lo
	s_delay_alu instid0(VALU_DEP_1) | instskip(SKIP_4) | instid1(VALU_DEP_1)
	v_cndmask_b32_e64 v3, v3, v7, s4
	ds_bpermute_b32 v7, v10, v3
	s_wait_dscnt 0x0
	v_cmp_lt_f32_e32 vcc_lo, v3, v7
	v_cndmask_b32_e32 v7, v3, v7, vcc_lo
	v_cndmask_b32_e64 v3, v3, v7, s5
	ds_bpermute_b32 v7, v11, v3
	s_wait_dscnt 0x0
	v_cmp_lt_f32_e32 vcc_lo, v3, v7
	v_cndmask_b32_e32 v7, v3, v7, vcc_lo
	s_delay_alu instid0(VALU_DEP_1) | instskip(SKIP_4) | instid1(VALU_DEP_1)
	v_cndmask_b32_e64 v3, v3, v7, s6
	ds_bpermute_b32 v7, v12, v3
	s_wait_dscnt 0x0
	v_cmp_lt_f32_e32 vcc_lo, v3, v7
	v_cndmask_b32_e32 v7, v3, v7, vcc_lo
	v_cndmask_b32_e64 v3, v3, v7, s7
	ds_bpermute_b32 v2, v2, v3
	s_wait_dscnt 0x0
	v_cmp_lt_f32_e32 vcc_lo, v3, v2
	s_and_b32 vcc_lo, s10, vcc_lo
	v_cndmask_b32_e32 v2, v3, v2, vcc_lo
	s_or_b32 vcc_lo, s10, s3
	s_delay_alu instid0(VALU_DEP_1)
	v_cndmask_b32_e32 v2, v13, v2, vcc_lo
	s_and_saveexec_b32 s3, s8
; %bb.16:
	v_lshrrev_b32_e32 v3, 4, v0
	s_delay_alu instid0(VALU_DEP_1)
	v_and_b32_e32 v3, 60, v3
	ds_store_b32 v3, v2 offset:192
; %bb.17:
	s_or_b32 exec_lo, exec_lo, s3
	s_wait_dscnt 0x0
	s_barrier_signal -1
	s_barrier_wait -1
	s_and_saveexec_b32 s5, s9
	s_cbranch_execz .LBB2_19
; %bb.18:
	ds_load_b32 v2, v8 offset:192
	v_cmp_ne_u32_e32 vcc_lo, 15, v5
	s_add_co_i32 s3, s36, 63
	v_add_nc_u32_e32 v7, 1, v5
	s_lshr_b32 s4, s3, 6
	v_cmp_gt_u32_e64 s3, 12, v5
	v_add_co_ci_u32_e64 v3, null, 0, v1, vcc_lo
	v_cmp_gt_u32_e32 vcc_lo, 14, v5
	s_delay_alu instid0(VALU_DEP_3) | instskip(NEXT) | instid1(VALU_DEP_3)
	v_cndmask_b32_e64 v9, 0, 4, s3
	v_lshlrev_b32_e32 v3, 2, v3
	v_cndmask_b32_e64 v8, 0, 2, vcc_lo
	s_delay_alu instid0(VALU_DEP_1) | instskip(NEXT) | instid1(VALU_DEP_4)
	v_add_lshl_u32 v8, v8, v1, 2
	v_add_lshl_u32 v1, v9, v1, 2
	s_wait_dscnt 0x0
	ds_bpermute_b32 v3, v3, v2
	s_wait_dscnt 0x0
	v_cmp_lt_f32_e32 vcc_lo, v2, v3
	v_cndmask_b32_e32 v3, v2, v3, vcc_lo
	v_cmp_gt_u32_e32 vcc_lo, s4, v7
	s_delay_alu instid0(VALU_DEP_2) | instskip(SKIP_4) | instid1(VALU_DEP_1)
	v_cndmask_b32_e32 v3, v2, v3, vcc_lo
	ds_bpermute_b32 v7, v8, v3
	v_add_nc_u32_e32 v8, 2, v5
	s_wait_dscnt 0x0
	v_cmp_lt_f32_e64 s3, v3, v7
	v_cndmask_b32_e64 v7, v3, v7, s3
	s_delay_alu instid0(VALU_DEP_3) | instskip(NEXT) | instid1(VALU_DEP_1)
	v_cmp_gt_u32_e64 s3, s4, v8
	v_dual_cndmask_b32 v3, v3, v7, s3 :: v_dual_add_nc_u32 v7, 4, v5
	v_add_nc_u32_e32 v5, 8, v5
	ds_bpermute_b32 v1, v1, v3
	s_wait_dscnt 0x0
	v_cmp_lt_f32_e64 s3, v3, v1
	s_delay_alu instid0(VALU_DEP_1) | instskip(SKIP_1) | instid1(VALU_DEP_1)
	v_cndmask_b32_e64 v1, v3, v1, s3
	v_cmp_gt_u32_e64 s3, s4, v7
	v_cndmask_b32_e64 v1, v3, v1, s3
	v_cmp_gt_u32_e64 s3, s4, v5
	ds_bpermute_b32 v3, v6, v1
	s_wait_dscnt 0x0
	v_cmp_lt_f32_e64 s4, v1, v3
	s_and_b32 s3, s3, s4
	s_delay_alu instid0(SALU_CYCLE_1) | instskip(NEXT) | instid1(VALU_DEP_1)
	v_cndmask_b32_e64 v1, v1, v3, s3
	v_cndmask_b32_e32 v2, v2, v1, vcc_lo
.LBB2_19:
	s_or_b32 exec_lo, exec_lo, s5
	s_and_saveexec_b32 s3, s11
	s_cbranch_execz .LBB2_23
; %bb.20:
	s_cmp_eq_u64 s[20:21], 0
	s_cbranch_scc1 .LBB2_22
; %bb.21:
	s_load_b32 s4, s[20:21], 0x0
	v_max_num_f32_e32 v1, v2, v2
	s_wait_kmcnt 0x0
	v_max_num_f32_e64 v2, s4, s4
	s_delay_alu instid0(VALU_DEP_1)
	v_min_num_f32_e32 v2, v1, v2
.LBB2_22:
	s_delay_alu instid0(VALU_DEP_1)
	v_div_scale_f32 v1, null, 0x42fe0000, 0x42fe0000, v2
	v_div_scale_f32 v6, vcc_lo, v2, 0x42fe0000, v2
	s_lshl_b64 s[4:5], s[28:29], 2
	v_rcp_f32_e32 v3, v1
	s_add_nc_u64 s[4:5], s[14:15], s[4:5]
	v_nop
	s_delay_alu instid0(TRANS32_DEP_1) | instskip(NEXT) | instid1(VALU_DEP_1)
	v_fma_f32 v5, -v1, v3, 1.0
	v_fmac_f32_e32 v3, v5, v3
	s_delay_alu instid0(VALU_DEP_1) | instskip(NEXT) | instid1(VALU_DEP_1)
	v_mul_f32_e32 v5, v6, v3
	v_fma_f32 v7, -v1, v5, v6
	s_delay_alu instid0(VALU_DEP_1) | instskip(NEXT) | instid1(VALU_DEP_1)
	v_fmac_f32_e32 v5, v7, v3
	v_fma_f32 v1, -v1, v5, v6
	s_delay_alu instid0(VALU_DEP_1) | instskip(NEXT) | instid1(VALU_DEP_1)
	v_div_fmas_f32 v1, v1, v3, v5
	v_div_fixup_f32 v1, v1, 0x42fe0000, v2
	s_delay_alu instid0(VALU_DEP_1)
	v_dual_mov_b32 v2, 0 :: v_dual_max_num_f32 v1, 0x34000000, v1
	ds_store_b32 v2, v1 offset:268
	global_store_b32 v2, v1, s[4:5]
.LBB2_23:
	s_wait_xcnt 0x0
	s_or_b32 exec_lo, exec_lo, s3
	s_wait_storecnt_dscnt 0x0
	s_barrier_signal -1
	s_barrier_wait -1
	s_and_saveexec_b32 s3, s2
	s_cbranch_execz .LBB2_26
; %bb.24:
	v_mov_b32_e32 v3, 0
	s_mov_b32 s2, 0
	ds_load_b32 v1, v3 offset:268
	s_wait_dscnt 0x0
	v_div_scale_f32 v2, null, v1, v1, 1.0
	v_div_scale_f32 v7, vcc_lo, 1.0, v1, 1.0
	s_delay_alu instid0(VALU_DEP_2)
	v_rcp_f32_e32 v5, v2
	v_nop
	v_xor_b32_e32 v2, 0x80000000, v2
	s_delay_alu instid0(TRANS32_DEP_1) | instid1(VALU_DEP_1)
	v_fma_f32 v6, v2, v5, 1.0
	s_delay_alu instid0(VALU_DEP_1) | instskip(NEXT) | instid1(VALU_DEP_1)
	v_fmac_f32_e32 v5, v6, v5
	v_mul_f32_e32 v6, v7, v5
	s_delay_alu instid0(VALU_DEP_1) | instskip(NEXT) | instid1(VALU_DEP_1)
	v_fma_f32 v8, v2, v6, v7
	v_fmac_f32_e32 v6, v8, v5
	s_delay_alu instid0(VALU_DEP_1) | instskip(NEXT) | instid1(VALU_DEP_1)
	v_fmac_f32_e32 v7, v2, v6
	v_div_fmas_f32 v2, v7, v5, v6
	s_delay_alu instid0(VALU_DEP_1)
	v_div_fixup_f32 v1, v2, v1, 1.0
	v_mov_b32_e32 v2, v0
.LBB2_25:                               ; =>This Inner Loop Header: Depth=1
	s_delay_alu instid0(VALU_DEP_1) | instskip(NEXT) | instid1(VALU_DEP_1)
	v_add_nc_u64_e32 v[6:7], s[26:27], v[2:3]
	v_lshlrev_b64_e32 v[8:9], 2, v[6:7]
	v_add_nc_u64_e32 v[6:7], s[12:13], v[6:7]
	s_delay_alu instid0(VALU_DEP_2)
	v_add_nc_u64_e32 v[10:11], s[16:17], v[8:9]
	v_add_nc_u64_e32 v[8:9], s[30:31], v[8:9]
	global_load_b32 v5, v[10:11], off
	global_load_b32 v12, v[8:9], off
	global_load_b32 v13, v2, s[18:19] scale_offset
	s_wait_loadcnt 0x1
	s_wait_xcnt 0x0
	v_dual_add_f32 v5, v5, v12 :: v_dual_add_nc_u32 v2, s36, v2
	s_delay_alu instid0(VALU_DEP_1) | instskip(SKIP_1) | instid1(VALU_DEP_1)
	v_mul_f32_e32 v10, v4, v5
	s_wait_loadcnt 0x0
	v_mul_f32_e32 v10, v10, v13
	s_delay_alu instid0(VALU_DEP_1) | instskip(NEXT) | instid1(VALU_DEP_1)
	v_mul_f32_e32 v10, v1, v10
	v_rndne_f32_e32 v10, v10
	s_delay_alu instid0(VALU_DEP_1) | instskip(SKIP_2) | instid1(VALU_DEP_2)
	v_cmp_nlt_f32_e32 vcc_lo, 0x42fe0000, v10
	v_cndmask_b32_e32 v11, 0x42fe0000, v10, vcc_lo
	v_cmp_ngt_f32_e32 vcc_lo, 0xc3000000, v10
	v_cndmask_b32_e32 v10, 0xc3000000, v11, vcc_lo
	v_cmp_le_u32_e32 vcc_lo, s23, v2
	s_delay_alu instid0(VALU_DEP_2)
	v_cvt_i32_f32_e32 v10, v10
	s_or_b32 s2, vcc_lo, s2
	global_store_b32 v[8:9], v5, off
	global_store_b8 v[6:7], v10, off
	s_wait_xcnt 0x0
	s_and_not1_b32 exec_lo, exec_lo, s2
	s_cbranch_execnz .LBB2_25
.LBB2_26:
	s_or_b32 exec_lo, exec_lo, s3
	s_branch .LBB2_71
.LBB2_27:
	s_cbranch_execz .LBB2_71
; %bb.28:
	s_load_b32 s1, s[0:1], 0x38
	s_bfe_u32 s2, ttmp6, 0x4000c
	s_wait_xcnt 0x0
	s_and_b32 s0, ttmp6, 15
	s_add_co_i32 s2, s2, 1
	s_mov_b32 s29, 0
	s_mul_i32 s2, ttmp9, s2
	v_mov_b32_e32 v1, 0
	s_add_co_i32 s0, s0, s2
	s_cmp_eq_u32 s33, 0
	s_mov_b32 s2, s23
	s_cselect_b32 s28, ttmp9, s0
	s_ashr_i32 s3, s23, 31
	s_ashr_i32 s33, s23, 2
	s_mul_u64 s[26:27], s[2:3], s[28:29]
	v_cmp_gt_u32_e64 s0, s33, v0
	s_lshl_b64 s[2:3], s[26:27], 2
	s_delay_alu instid0(SALU_CYCLE_1)
	s_add_nc_u64 s[10:11], s[16:17], s[2:3]
	s_add_nc_u64 s[16:17], s[30:31], s[2:3]
	s_and_saveexec_b32 s2, s0
	s_cbranch_execz .LBB2_38
; %bb.29:
	s_wait_kmcnt 0x0
	s_cmp_lt_u32 s28, s1
	s_mov_b32 s5, s29
	s_cselect_b32 s4, 12, 18
	v_dual_mov_b32 v1, 0 :: v_dual_mov_b32 v2, v0
	s_add_nc_u64 s[4:5], s[24:25], s[4:5]
	s_mov_b32 s6, s29
	s_load_u16 s3, s[4:5], 0x0
                                        ; implicit-def: $sgpr8
	s_wait_kmcnt 0x0
	s_lshl_b32 s4, s3, 1
	s_mul_i32 s5, s3, 3
	s_add_co_i32 s7, s3, s3
	s_branch .LBB2_33
.LBB2_30:                               ;   in Loop: Header=BB2_33 Depth=1
	s_or_b32 exec_lo, exec_lo, s31
	s_delay_alu instid0(SALU_CYCLE_1)
	s_or_not1_b32 s31, s34, exec_lo
.LBB2_31:                               ;   in Loop: Header=BB2_33 Depth=1
	s_or_b32 exec_lo, exec_lo, s30
	s_delay_alu instid0(SALU_CYCLE_1) | instskip(SKIP_1) | instid1(SALU_CYCLE_1)
	s_and_not1_b32 s8, s8, exec_lo
	s_and_b32 s30, s31, exec_lo
	s_or_b32 s8, s8, s30
.LBB2_32:                               ;   in Loop: Header=BB2_33 Depth=1
	s_or_b32 exec_lo, exec_lo, s9
	s_delay_alu instid0(SALU_CYCLE_1) | instskip(NEXT) | instid1(SALU_CYCLE_1)
	s_and_b32 s9, exec_lo, s8
	s_or_b32 s6, s9, s6
	s_delay_alu instid0(SALU_CYCLE_1)
	s_and_not1_b32 exec_lo, exec_lo, s6
	s_cbranch_execz .LBB2_37
.LBB2_33:                               ; =>This Inner Loop Header: Depth=1
	s_clause 0x1
	global_load_b128 v[4:7], v2, s[10:11] scale_offset
	global_load_b128 v[8:11], v2, s[16:17] scale_offset
	s_or_b32 s8, s8, exec_lo
	s_mov_b32 s9, exec_lo
	v_add_nc_u32_e32 v3, s3, v2
	s_wait_loadcnt 0x0
	v_pk_add_f32 v[4:5], v[4:5], v[8:9]
	v_pk_add_f32 v[6:7], v[6:7], v[10:11]
	s_delay_alu instid0(VALU_DEP_2) | instskip(NEXT) | instid1(VALU_DEP_2)
	v_pk_mul_f32 v[4:5], v[4:5], v[4:5]
	v_pk_mul_f32 v[6:7], v[6:7], v[6:7]
	s_delay_alu instid0(VALU_DEP_2) | instskip(NEXT) | instid1(VALU_DEP_1)
	v_add_f32_e32 v1, v1, v4
	v_add_f32_e32 v1, v1, v5
	s_delay_alu instid0(VALU_DEP_1) | instskip(NEXT) | instid1(VALU_DEP_1)
	v_add_f32_e32 v1, v1, v6
	v_add_f32_e32 v1, v1, v7
	s_wait_xcnt 0x0
	v_cmpx_gt_u32_e64 s33, v3
	s_cbranch_execz .LBB2_32
; %bb.34:                               ;   in Loop: Header=BB2_33 Depth=1
	s_clause 0x1
	global_load_b128 v[4:7], v3, s[10:11] scale_offset
	global_load_b128 v[8:11], v3, s[16:17] scale_offset
	s_mov_b32 s31, -1
	s_mov_b32 s30, exec_lo
	s_wait_loadcnt 0x0
	v_pk_add_f32 v[4:5], v[4:5], v[8:9]
	v_pk_add_f32 v[6:7], v[6:7], v[10:11]
	s_delay_alu instid0(VALU_DEP_2) | instskip(NEXT) | instid1(VALU_DEP_2)
	v_pk_mul_f32 v[4:5], v[4:5], v[4:5]
	v_pk_mul_f32 v[6:7], v[6:7], v[6:7]
	s_delay_alu instid0(VALU_DEP_2) | instskip(NEXT) | instid1(VALU_DEP_1)
	v_dual_add_f32 v1, v1, v4 :: v_dual_add_nc_u32 v4, s4, v2
	v_add_f32_e32 v1, v1, v5
	s_delay_alu instid0(VALU_DEP_1) | instskip(NEXT) | instid1(VALU_DEP_1)
	v_add_f32_e32 v1, v1, v6
	v_add_f32_e32 v1, v1, v7
	s_wait_xcnt 0x0
	v_cmpx_gt_u32_e64 s33, v4
	s_cbranch_execz .LBB2_31
; %bb.35:                               ;   in Loop: Header=BB2_33 Depth=1
	s_clause 0x1
	global_load_b128 v[6:9], v4, s[10:11] scale_offset
	global_load_b128 v[10:13], v4, s[16:17] scale_offset
	s_mov_b32 s34, -1
	s_mov_b32 s31, exec_lo
	s_wait_loadcnt 0x0
	v_pk_add_f32 v[4:5], v[6:7], v[10:11]
	v_pk_add_f32 v[6:7], v[8:9], v[12:13]
	s_delay_alu instid0(VALU_DEP_2) | instskip(NEXT) | instid1(VALU_DEP_2)
	v_pk_mul_f32 v[4:5], v[4:5], v[4:5]
	v_pk_mul_f32 v[6:7], v[6:7], v[6:7]
	s_delay_alu instid0(VALU_DEP_2) | instskip(NEXT) | instid1(VALU_DEP_1)
	v_dual_add_f32 v1, v1, v4 :: v_dual_add_nc_u32 v4, s5, v2
                                        ; implicit-def: $vgpr2
	v_add_f32_e32 v1, v1, v5
	s_delay_alu instid0(VALU_DEP_1) | instskip(NEXT) | instid1(VALU_DEP_1)
	v_add_f32_e32 v1, v1, v6
	v_add_f32_e32 v1, v1, v7
	s_delay_alu instid0(VALU_DEP_4)
	v_cmpx_gt_u32_e64 s33, v4
	s_xor_b32 s31, exec_lo, s31
	s_cbranch_execz .LBB2_30
; %bb.36:                               ;   in Loop: Header=BB2_33 Depth=1
	s_clause 0x1
	global_load_b128 v[6:9], v4, s[10:11] scale_offset
	global_load_b128 v[10:13], v4, s[16:17] scale_offset
	v_add3_u32 v2, s7, s3, v3
	s_delay_alu instid0(VALU_DEP_1) | instskip(SKIP_4) | instid1(VALU_DEP_2)
	v_cmp_le_u32_e32 vcc_lo, s33, v2
	s_or_not1_b32 s34, vcc_lo, exec_lo
	s_wait_loadcnt 0x0
	v_pk_add_f32 v[4:5], v[6:7], v[10:11]
	v_pk_add_f32 v[6:7], v[8:9], v[12:13]
	v_pk_mul_f32 v[4:5], v[4:5], v[4:5]
	s_delay_alu instid0(VALU_DEP_1) | instskip(NEXT) | instid1(VALU_DEP_1)
	v_add_f32_e32 v1, v1, v4
	v_add_f32_e32 v1, v1, v5
	s_delay_alu instid0(VALU_DEP_4) | instskip(NEXT) | instid1(VALU_DEP_1)
	v_pk_mul_f32 v[4:5], v[6:7], v[6:7]
	v_add_f32_e32 v1, v1, v4
	s_delay_alu instid0(VALU_DEP_1)
	v_add_f32_e32 v1, v1, v5
	s_branch .LBB2_30
.LBB2_37:
	s_or_b32 exec_lo, exec_lo, s6
.LBB2_38:
	s_delay_alu instid0(SALU_CYCLE_1)
	s_or_b32 exec_lo, exec_lo, s2
	v_mbcnt_lo_u32_b32 v2, -1, 0
	s_wait_kmcnt 0x0
	s_cmp_lt_u32 s28, s1
	s_mov_b32 s3, 0
	s_cselect_b32 s2, 12, 18
	v_and_b32_e32 v5, 0x3c0, v0
	v_cmp_ne_u32_e32 vcc_lo, 63, v2
	s_add_nc_u64 s[2:3], s[24:25], s[2:3]
	v_cmp_eq_u32_e64 s6, 0, v2
	s_load_u16 s24, s[2:3], 0x0
	v_add_nc_u32_e32 v6, 1, v2
	v_add_co_ci_u32_e64 v3, null, 0, v2, vcc_lo
	v_cmp_gt_u32_e32 vcc_lo, 62, v2
	v_dual_add_nc_u32 v8, 4, v2 :: v_dual_add_nc_u32 v10, 8, v2
	s_delay_alu instid0(VALU_DEP_3)
	v_lshlrev_b32_e32 v4, 2, v3
	v_cndmask_b32_e64 v7, 0, 2, vcc_lo
	v_cmp_gt_u32_e32 vcc_lo, 60, v2
	ds_bpermute_b32 v3, v4, v1
	s_wait_kmcnt 0x0
	v_sub_nc_u32_e64 v9, s24, v5 clamp
	v_add_lshl_u32 v5, v7, v2, 2
	v_add_nc_u32_e32 v7, 2, v2
	s_delay_alu instid0(VALU_DEP_3) | instskip(SKIP_1) | instid1(VALU_DEP_3)
	v_cmp_lt_u32_e64 s1, v6, v9
	v_cndmask_b32_e64 v6, 0, 4, vcc_lo
	v_cmp_lt_u32_e64 s2, v7, v9
	v_cmp_gt_u32_e32 vcc_lo, 56, v2
	v_cmp_lt_u32_e64 s3, v8, v9
	v_cmp_lt_u32_e64 s4, v10, v9
	v_add_lshl_u32 v6, v6, v2, 2
	s_wait_dscnt 0x0
	v_dual_add_f32 v3, v1, v3 :: v_dual_add_nc_u32 v10, 16, v2
	v_cndmask_b32_e64 v7, 0, 8, vcc_lo
	v_cmp_gt_u32_e32 vcc_lo, 48, v2
	s_delay_alu instid0(VALU_DEP_3) | instskip(NEXT) | instid1(VALU_DEP_4)
	v_cndmask_b32_e64 v1, v1, v3, s1
	v_cmp_lt_u32_e64 s5, v10, v9
	s_delay_alu instid0(VALU_DEP_4)
	v_add_lshl_u32 v7, v7, v2, 2
	v_cndmask_b32_e64 v8, 0, 16, vcc_lo
	ds_bpermute_b32 v3, v5, v1
	v_add_lshl_u32 v8, v8, v2, 2
	s_wait_dscnt 0x0
	v_add_f32_e32 v3, v1, v3
	s_delay_alu instid0(VALU_DEP_1) | instskip(SKIP_3) | instid1(VALU_DEP_1)
	v_cndmask_b32_e64 v1, v1, v3, s2
	ds_bpermute_b32 v3, v6, v1
	s_wait_dscnt 0x0
	v_add_f32_e32 v3, v1, v3
	v_cndmask_b32_e64 v1, v1, v3, s3
	ds_bpermute_b32 v3, v7, v1
	s_wait_dscnt 0x0
	v_add_f32_e32 v3, v1, v3
	s_delay_alu instid0(VALU_DEP_1) | instskip(SKIP_3) | instid1(VALU_DEP_1)
	v_cndmask_b32_e64 v1, v1, v3, s4
	ds_bpermute_b32 v3, v8, v1
	s_wait_dscnt 0x0
	v_dual_add_f32 v11, v1, v3 :: v_dual_lshlrev_b32 v3, 2, v2
	v_dual_cndmask_b32 v1, v1, v11, s5 :: v_dual_bitop2_b32 v11, 32, v2 bitop3:0x54
	ds_bpermute_b32 v10, v3, v1 offset:128
	v_cmp_lt_u32_e64 s8, v11, v9
	s_wait_dscnt 0x0
	v_add_f32_e32 v10, v1, v10
	s_delay_alu instid0(VALU_DEP_1)
	v_cndmask_b32_e64 v1, v1, v10, s8
	s_and_saveexec_b32 s7, s6
; %bb.39:
	v_lshrrev_b32_e32 v9, 4, v0
	s_delay_alu instid0(VALU_DEP_1)
	v_and_b32_e32 v9, 60, v9
	ds_store_b32 v9, v1
; %bb.40:
	s_or_b32 exec_lo, exec_lo, s7
	v_cmp_gt_u32_e64 s7, 16, v0
	s_wait_storecnt_dscnt 0x0
	s_barrier_signal -1
	s_barrier_wait -1
	s_and_saveexec_b32 s25, s7
	s_cbranch_execz .LBB2_42
; %bb.41:
	ds_load_b32 v1, v3
	v_and_b32_e32 v9, 15, v2
	s_add_co_i32 s9, s24, 63
	s_delay_alu instid0(SALU_CYCLE_1) | instskip(NEXT) | instid1(VALU_DEP_1)
	s_lshr_b32 s30, s9, 6
	v_cmp_ne_u32_e32 vcc_lo, 15, v9
	v_add_nc_u32_e32 v12, 1, v9
	v_add_co_ci_u32_e64 v10, null, 0, v2, vcc_lo
	v_cmp_gt_u32_e32 vcc_lo, 14, v9
	s_delay_alu instid0(VALU_DEP_2)
	v_lshlrev_b32_e32 v10, 2, v10
	v_cndmask_b32_e64 v11, 0, 2, vcc_lo
	v_cmp_gt_u32_e32 vcc_lo, s30, v12
	s_wait_dscnt 0x0
	ds_bpermute_b32 v10, v10, v1
	v_add_lshl_u32 v11, v11, v2, 2
	s_wait_dscnt 0x0
	v_add_f32_e32 v10, v1, v10
	s_delay_alu instid0(VALU_DEP_1)
	v_cndmask_b32_e32 v10, v1, v10, vcc_lo
	ds_bpermute_b32 v11, v11, v10
	s_wait_dscnt 0x0
	v_add_f32_e32 v11, v10, v11
	v_cmp_gt_u32_e64 s9, 12, v9
	v_add_nc_u32_e32 v13, 2, v9
	s_delay_alu instid0(VALU_DEP_2) | instskip(NEXT) | instid1(VALU_DEP_2)
	v_cndmask_b32_e64 v12, 0, 4, s9
	v_cmp_gt_u32_e64 s9, s30, v13
	s_delay_alu instid0(VALU_DEP_2) | instskip(NEXT) | instid1(VALU_DEP_2)
	v_add_lshl_u32 v12, v12, v2, 2
	v_cndmask_b32_e64 v10, v10, v11, s9
	ds_bpermute_b32 v11, v12, v10
	v_dual_add_nc_u32 v12, 4, v9 :: v_dual_add_nc_u32 v9, 8, v9
	s_delay_alu instid0(VALU_DEP_1) | instskip(SKIP_2) | instid1(VALU_DEP_1)
	v_cmp_gt_u32_e64 s9, s30, v12
	s_wait_dscnt 0x0
	v_add_f32_e32 v11, v10, v11
	v_cndmask_b32_e64 v10, v10, v11, s9
	v_or_b32_e32 v11, 32, v3
	v_cmp_gt_u32_e64 s9, s30, v9
	ds_bpermute_b32 v11, v11, v10
	s_wait_dscnt 0x0
	v_add_f32_e32 v11, v10, v11
	s_delay_alu instid0(VALU_DEP_1) | instskip(NEXT) | instid1(VALU_DEP_1)
	v_cndmask_b32_e64 v9, v10, v11, s9
	v_cndmask_b32_e32 v1, v1, v9, vcc_lo
.LBB2_42:
	s_or_b32 exec_lo, exec_lo, s25
	v_cmp_eq_u32_e64 s9, 0, v0
	s_and_saveexec_b32 s25, s9
	s_cbranch_execz .LBB2_44
; %bb.43:
	s_cvt_f32_i32 s23, s23
	s_delay_alu instid0(SALU_CYCLE_3) | instskip(SKIP_1) | instid1(VALU_DEP_2)
	v_div_scale_f32 v9, null, s23, s23, v1
	v_div_scale_f32 v12, vcc_lo, v1, s23, v1
	v_rcp_f32_e32 v10, v9
	v_nop
	s_delay_alu instid0(TRANS32_DEP_1) | instskip(NEXT) | instid1(VALU_DEP_1)
	v_fma_f32 v11, -v9, v10, 1.0
	v_fmac_f32_e32 v10, v11, v10
	s_delay_alu instid0(VALU_DEP_1) | instskip(NEXT) | instid1(VALU_DEP_1)
	v_mul_f32_e32 v11, v12, v10
	v_fma_f32 v13, -v9, v11, v12
	s_delay_alu instid0(VALU_DEP_1) | instskip(NEXT) | instid1(VALU_DEP_1)
	v_fmac_f32_e32 v11, v13, v10
	v_fma_f32 v9, -v9, v11, v12
	s_delay_alu instid0(VALU_DEP_1) | instskip(NEXT) | instid1(VALU_DEP_1)
	v_div_fmas_f32 v9, v9, v10, v11
	v_div_fixup_f32 v1, v9, s23, v1
	s_delay_alu instid0(VALU_DEP_1) | instskip(NEXT) | instid1(VALU_DEP_1)
	v_add_f32_e32 v1, s22, v1
	v_mul_f32_e32 v9, 0x4b800000, v1
	v_cmp_gt_f32_e32 vcc_lo, 0x800000, v1
	s_delay_alu instid0(VALU_DEP_2) | instskip(NEXT) | instid1(VALU_DEP_1)
	v_cndmask_b32_e32 v1, v1, v9, vcc_lo
	v_rsq_f32_e32 v1, v1
	v_nop
	s_delay_alu instid0(TRANS32_DEP_1) | instskip(NEXT) | instid1(VALU_DEP_1)
	v_mul_f32_e32 v9, 0x45800000, v1
	v_dual_cndmask_b32 v1, v1, v9, vcc_lo :: v_dual_mov_b32 v9, 0
	ds_store_b32 v9, v1 offset:256
.LBB2_44:
	s_or_b32 exec_lo, exec_lo, s25
	v_mov_b32_e32 v9, 0
	s_wait_dscnt 0x0
	s_barrier_signal -1
	s_barrier_wait -1
	ds_load_b32 v1, v9 offset:256
	s_and_saveexec_b32 s22, s0
	s_cbranch_execz .LBB2_54
; %bb.45:
	v_dual_mov_b32 v9, 0 :: v_dual_mov_b32 v10, v0
	s_lshl_b32 s23, s24, 1
	s_mul_i32 s30, s24, 3
	s_mov_b32 s25, 0
	s_add_co_i32 s31, s24, s24
                                        ; implicit-def: $sgpr34
	s_branch .LBB2_49
.LBB2_46:                               ;   in Loop: Header=BB2_49 Depth=1
	s_or_b32 exec_lo, exec_lo, s37
	s_delay_alu instid0(SALU_CYCLE_1)
	s_or_not1_b32 s37, s38, exec_lo
.LBB2_47:                               ;   in Loop: Header=BB2_49 Depth=1
	s_or_b32 exec_lo, exec_lo, s36
	s_delay_alu instid0(SALU_CYCLE_1) | instskip(SKIP_1) | instid1(SALU_CYCLE_1)
	s_and_not1_b32 s34, s34, exec_lo
	s_and_b32 s36, s37, exec_lo
	s_or_b32 s34, s34, s36
.LBB2_48:                               ;   in Loop: Header=BB2_49 Depth=1
	s_or_b32 exec_lo, exec_lo, s35
	s_delay_alu instid0(SALU_CYCLE_1) | instskip(NEXT) | instid1(SALU_CYCLE_1)
	s_and_b32 s35, exec_lo, s34
	s_or_b32 s25, s35, s25
	s_delay_alu instid0(SALU_CYCLE_1)
	s_and_not1_b32 exec_lo, exec_lo, s25
	s_cbranch_execz .LBB2_53
.LBB2_49:                               ; =>This Inner Loop Header: Depth=1
	s_clause 0x2
	global_load_b128 v[12:15], v10, s[10:11] scale_offset
	global_load_b128 v[16:19], v10, s[16:17] scale_offset
	global_load_b128 v[20:23], v10, s[18:19] scale_offset
	s_or_b32 s34, s34, exec_lo
	s_mov_b32 s35, exec_lo
	s_wait_loadcnt 0x1
	v_dual_add_f32 v11, v12, v16 :: v_dual_add_f32 v12, v13, v17
	v_dual_add_f32 v13, v14, v18 :: v_dual_add_f32 v14, v15, v19
	s_wait_dscnt 0x0
	s_delay_alu instid0(VALU_DEP_2) | instskip(NEXT) | instid1(VALU_DEP_2)
	v_dual_mul_f32 v11, v1, v11 :: v_dual_mul_f32 v12, v1, v12
	v_dual_mul_f32 v13, v1, v13 :: v_dual_mul_f32 v14, v1, v14
	s_wait_loadcnt 0x0
	s_delay_alu instid0(VALU_DEP_2) | instskip(NEXT) | instid1(VALU_DEP_2)
	v_dual_mul_f32 v11, v20, v11 :: v_dual_mul_f32 v12, v21, v12
	v_dual_mul_f32 v13, v22, v13 :: v_dual_mul_f32 v14, v23, v14
	s_delay_alu instid0(VALU_DEP_2) | instskip(SKIP_1) | instid1(VALU_DEP_2)
	v_max3_num_f32 v9, v9, |v11|, |v12|
	v_add_nc_u32_e32 v11, s24, v10
	v_max3_num_f32 v9, v9, |v13|, |v14|
	s_delay_alu instid0(VALU_DEP_2)
	v_cmpx_gt_u32_e64 s33, v11
	s_cbranch_execz .LBB2_48
; %bb.50:                               ;   in Loop: Header=BB2_49 Depth=1
	s_clause 0x2
	global_load_b128 v[12:15], v11, s[10:11] scale_offset
	global_load_b128 v[16:19], v11, s[16:17] scale_offset
	;; [unrolled: 1-line block ×3, first 2 shown]
	s_mov_b32 s37, -1
	s_mov_b32 s36, exec_lo
	s_wait_loadcnt 0x1
	v_dual_add_f32 v12, v12, v16 :: v_dual_add_f32 v13, v13, v17
	v_dual_add_f32 v14, v14, v18 :: v_dual_add_f32 v15, v15, v19
	s_delay_alu instid0(VALU_DEP_2) | instskip(NEXT) | instid1(VALU_DEP_2)
	v_dual_mul_f32 v12, v1, v12 :: v_dual_mul_f32 v13, v1, v13
	v_dual_mul_f32 v14, v1, v14 :: v_dual_mul_f32 v15, v1, v15
	s_wait_loadcnt 0x0
	s_delay_alu instid0(VALU_DEP_2) | instskip(NEXT) | instid1(VALU_DEP_2)
	v_dual_mul_f32 v12, v20, v12 :: v_dual_mul_f32 v13, v21, v13
	v_dual_mul_f32 v14, v22, v14 :: v_dual_mul_f32 v15, v23, v15
	s_delay_alu instid0(VALU_DEP_2) | instskip(SKIP_1) | instid1(VALU_DEP_2)
	v_max3_num_f32 v9, v9, |v12|, |v13|
	v_add_nc_u32_e32 v12, s23, v10
	v_max3_num_f32 v9, v9, |v14|, |v15|
	s_delay_alu instid0(VALU_DEP_2)
	v_cmpx_gt_u32_e64 s33, v12
	s_cbranch_execz .LBB2_47
; %bb.51:                               ;   in Loop: Header=BB2_49 Depth=1
	s_clause 0x2
	global_load_b128 v[14:17], v12, s[10:11] scale_offset
	global_load_b128 v[18:21], v12, s[16:17] scale_offset
	;; [unrolled: 1-line block ×3, first 2 shown]
	s_mov_b32 s38, -1
	s_mov_b32 s37, exec_lo
	s_wait_loadcnt 0x1
	s_wait_xcnt 0x0
	v_dual_add_f32 v12, v14, v18 :: v_dual_add_f32 v13, v15, v19
	v_dual_add_f32 v14, v16, v20 :: v_dual_add_f32 v15, v17, v21
	s_delay_alu instid0(VALU_DEP_2) | instskip(NEXT) | instid1(VALU_DEP_2)
	v_dual_mul_f32 v12, v1, v12 :: v_dual_mul_f32 v13, v1, v13
	v_dual_mul_f32 v14, v1, v14 :: v_dual_mul_f32 v15, v1, v15
	s_wait_loadcnt 0x0
	s_delay_alu instid0(VALU_DEP_2) | instskip(NEXT) | instid1(VALU_DEP_2)
	v_dual_mul_f32 v12, v22, v12 :: v_dual_mul_f32 v13, v23, v13
	v_dual_mul_f32 v14, v24, v14 :: v_dual_mul_f32 v15, v25, v15
	s_delay_alu instid0(VALU_DEP_2) | instskip(SKIP_1) | instid1(VALU_DEP_2)
	v_max3_num_f32 v9, v9, |v12|, |v13|
	v_add_nc_u32_e32 v12, s30, v10
                                        ; implicit-def: $vgpr10
	v_max3_num_f32 v9, v9, |v14|, |v15|
	s_delay_alu instid0(VALU_DEP_2)
	v_cmpx_gt_u32_e64 s33, v12
	s_xor_b32 s37, exec_lo, s37
	s_cbranch_execz .LBB2_46
; %bb.52:                               ;   in Loop: Header=BB2_49 Depth=1
	s_clause 0x2
	global_load_b128 v[14:17], v12, s[10:11] scale_offset
	global_load_b128 v[18:21], v12, s[16:17] scale_offset
	;; [unrolled: 1-line block ×3, first 2 shown]
	s_wait_loadcnt 0x1
	s_wait_xcnt 0x0
	v_dual_add_f32 v10, v14, v18 :: v_dual_add_f32 v12, v15, v19
	s_delay_alu instid0(VALU_DEP_1) | instskip(NEXT) | instid1(VALU_DEP_1)
	v_dual_add_f32 v13, v16, v20 :: v_dual_mul_f32 v10, v1, v10
	v_dual_mul_f32 v12, v1, v12 :: v_dual_mul_f32 v13, v1, v13
	s_wait_loadcnt 0x0
	s_delay_alu instid0(VALU_DEP_2) | instskip(NEXT) | instid1(VALU_DEP_2)
	v_dual_add_f32 v14, v17, v21 :: v_dual_mul_f32 v15, v22, v10
	v_mul_f32_e32 v12, v23, v12
	v_add3_u32 v10, s31, s24, v11
	s_delay_alu instid0(VALU_DEP_3) | instskip(NEXT) | instid1(VALU_DEP_3)
	v_dual_mul_f32 v14, v1, v14 :: v_dual_mul_f32 v11, v24, v13
	v_max3_num_f32 v9, v9, |v15|, |v12|
	s_delay_alu instid0(VALU_DEP_3) | instskip(NEXT) | instid1(VALU_DEP_3)
	v_cmp_le_u32_e32 vcc_lo, s33, v10
	v_mul_f32_e32 v12, v25, v14
	s_or_not1_b32 s38, vcc_lo, exec_lo
	s_delay_alu instid0(VALU_DEP_1)
	v_max3_num_f32 v9, v9, |v11|, |v12|
	s_branch .LBB2_46
.LBB2_53:
	s_or_b32 exec_lo, exec_lo, s25
.LBB2_54:
	s_delay_alu instid0(SALU_CYCLE_1)
	s_or_b32 exec_lo, exec_lo, s22
	ds_bpermute_b32 v4, v4, v9
	v_or_b32_e32 v10, 0x80, v3
	s_wait_dscnt 0x0
	v_cmp_lt_f32_e32 vcc_lo, v9, v4
	v_cndmask_b32_e32 v4, v9, v4, vcc_lo
	s_delay_alu instid0(VALU_DEP_1) | instskip(SKIP_1) | instid1(SALU_CYCLE_1)
	v_cndmask_b32_e64 v4, v9, v4, s1
	s_or_b32 s1, s1, s2
	s_or_b32 s1, s3, s1
	s_delay_alu instid0(SALU_CYCLE_1)
	s_or_b32 s1, s4, s1
	ds_bpermute_b32 v5, v5, v4
	s_or_b32 s1, s5, s1
	s_wait_dscnt 0x0
	v_cmp_lt_f32_e32 vcc_lo, v4, v5
	v_cndmask_b32_e32 v5, v4, v5, vcc_lo
	s_delay_alu instid0(VALU_DEP_1) | instskip(SKIP_4) | instid1(VALU_DEP_1)
	v_cndmask_b32_e64 v4, v4, v5, s2
	ds_bpermute_b32 v5, v6, v4
	s_wait_dscnt 0x0
	v_cmp_lt_f32_e32 vcc_lo, v4, v5
	v_cndmask_b32_e32 v5, v4, v5, vcc_lo
	v_cndmask_b32_e64 v4, v4, v5, s3
	ds_bpermute_b32 v5, v7, v4
	s_wait_dscnt 0x0
	v_cmp_lt_f32_e32 vcc_lo, v4, v5
	v_cndmask_b32_e32 v5, v4, v5, vcc_lo
	s_delay_alu instid0(VALU_DEP_1) | instskip(SKIP_4) | instid1(VALU_DEP_1)
	v_cndmask_b32_e64 v4, v4, v5, s4
	ds_bpermute_b32 v5, v8, v4
	s_wait_dscnt 0x0
	v_cmp_lt_f32_e32 vcc_lo, v4, v5
	v_cndmask_b32_e32 v5, v4, v5, vcc_lo
	v_cndmask_b32_e64 v4, v4, v5, s5
	ds_bpermute_b32 v5, v10, v4
	s_wait_dscnt 0x0
	v_cmp_lt_f32_e32 vcc_lo, v4, v5
	s_and_b32 vcc_lo, s8, vcc_lo
	v_cndmask_b32_e32 v4, v4, v5, vcc_lo
	s_or_b32 vcc_lo, s8, s1
	s_delay_alu instid0(VALU_DEP_1)
	v_cndmask_b32_e32 v4, v9, v4, vcc_lo
	s_and_saveexec_b32 s1, s6
; %bb.55:
	v_lshrrev_b32_e32 v5, 4, v0
	s_delay_alu instid0(VALU_DEP_1)
	v_and_b32_e32 v5, 60, v5
	ds_store_b32 v5, v4 offset:64
; %bb.56:
	s_or_b32 exec_lo, exec_lo, s1
	s_wait_dscnt 0x0
	s_barrier_signal -1
	s_barrier_wait -1
	s_and_saveexec_b32 s3, s7
	s_cbranch_execz .LBB2_58
; %bb.57:
	ds_load_b32 v4, v3 offset:64
	v_and_b32_e32 v5, 15, v2
	s_add_co_i32 s1, s24, 63
	v_or_b32_e32 v3, 32, v3
	s_lshr_b32 s2, s1, 6
	s_delay_alu instid0(VALU_DEP_2) | instskip(SKIP_4) | instid1(VALU_DEP_3)
	v_cmp_ne_u32_e32 vcc_lo, 15, v5
	v_add_nc_u32_e32 v7, 1, v5
	v_cmp_gt_u32_e64 s1, 12, v5
	v_add_co_ci_u32_e64 v6, null, 0, v2, vcc_lo
	v_cmp_gt_u32_e32 vcc_lo, 14, v5
	v_cndmask_b32_e64 v9, 0, 4, s1
	s_delay_alu instid0(VALU_DEP_3)
	v_lshlrev_b32_e32 v6, 2, v6
	v_cndmask_b32_e64 v8, 0, 2, vcc_lo
	s_wait_dscnt 0x0
	ds_bpermute_b32 v6, v6, v4
	v_add_lshl_u32 v8, v8, v2, 2
	v_add_lshl_u32 v2, v9, v2, 2
	s_wait_dscnt 0x0
	v_cmp_lt_f32_e32 vcc_lo, v4, v6
	v_cndmask_b32_e32 v6, v4, v6, vcc_lo
	v_cmp_gt_u32_e32 vcc_lo, s2, v7
	s_delay_alu instid0(VALU_DEP_2) | instskip(SKIP_3) | instid1(VALU_DEP_1)
	v_cndmask_b32_e32 v6, v4, v6, vcc_lo
	ds_bpermute_b32 v7, v8, v6
	s_wait_dscnt 0x0
	v_cmp_lt_f32_e64 s1, v6, v7
	v_dual_cndmask_b32 v7, v6, v7, s1 :: v_dual_add_nc_u32 v8, 2, v5
	s_delay_alu instid0(VALU_DEP_1) | instskip(NEXT) | instid1(VALU_DEP_1)
	v_cmp_gt_u32_e64 s1, s2, v8
	v_dual_cndmask_b32 v6, v6, v7, s1 :: v_dual_add_nc_u32 v7, 4, v5
	v_add_nc_u32_e32 v5, 8, v5
	ds_bpermute_b32 v2, v2, v6
	s_wait_dscnt 0x0
	v_cmp_lt_f32_e64 s1, v6, v2
	s_delay_alu instid0(VALU_DEP_1) | instskip(SKIP_1) | instid1(VALU_DEP_1)
	v_cndmask_b32_e64 v2, v6, v2, s1
	v_cmp_gt_u32_e64 s1, s2, v7
	v_cndmask_b32_e64 v2, v6, v2, s1
	v_cmp_gt_u32_e64 s1, s2, v5
	ds_bpermute_b32 v3, v3, v2
	s_wait_dscnt 0x0
	v_cmp_lt_f32_e64 s2, v2, v3
	s_and_b32 s1, s1, s2
	s_delay_alu instid0(SALU_CYCLE_1) | instskip(NEXT) | instid1(VALU_DEP_1)
	v_cndmask_b32_e64 v2, v2, v3, s1
	v_cndmask_b32_e32 v4, v4, v2, vcc_lo
.LBB2_58:
	s_or_b32 exec_lo, exec_lo, s3
	s_and_saveexec_b32 s1, s9
	s_cbranch_execz .LBB2_62
; %bb.59:
	s_cmp_eq_u64 s[20:21], 0
	s_cbranch_scc1 .LBB2_61
; %bb.60:
	v_dual_mov_b32 v2, 0 :: v_dual_max_num_f32 v3, v4, v4
	global_load_b32 v2, v2, s[20:21]
	s_wait_loadcnt 0x0
	v_max_num_f32_e32 v2, v2, v2
	s_delay_alu instid0(VALU_DEP_1)
	v_min_num_f32_e32 v4, v3, v2
.LBB2_61:
	s_delay_alu instid0(VALU_DEP_1)
	v_div_scale_f32 v2, null, 0x42fe0000, 0x42fe0000, v4
	v_div_scale_f32 v6, vcc_lo, v4, 0x42fe0000, v4
	s_lshl_b64 s[2:3], s[28:29], 2
	v_rcp_f32_e32 v3, v2
	s_add_nc_u64 s[2:3], s[14:15], s[2:3]
	v_nop
	s_delay_alu instid0(TRANS32_DEP_1) | instskip(NEXT) | instid1(VALU_DEP_1)
	v_fma_f32 v5, -v2, v3, 1.0
	v_fmac_f32_e32 v3, v5, v3
	s_delay_alu instid0(VALU_DEP_1) | instskip(NEXT) | instid1(VALU_DEP_1)
	v_mul_f32_e32 v5, v6, v3
	v_fma_f32 v7, -v2, v5, v6
	s_delay_alu instid0(VALU_DEP_1) | instskip(NEXT) | instid1(VALU_DEP_1)
	v_fmac_f32_e32 v5, v7, v3
	v_fma_f32 v2, -v2, v5, v6
	s_delay_alu instid0(VALU_DEP_1) | instskip(SKIP_1) | instid1(VALU_DEP_2)
	v_div_fmas_f32 v2, v2, v3, v5
	v_mov_b32_e32 v3, 0
	v_div_fixup_f32 v2, v2, 0x42fe0000, v4
	s_delay_alu instid0(VALU_DEP_1)
	v_max_num_f32_e32 v2, 0x34000000, v2
	ds_store_b32 v3, v2 offset:260
	global_store_b32 v3, v2, s[2:3]
.LBB2_62:
	s_wait_xcnt 0x0
	s_or_b32 exec_lo, exec_lo, s1
	s_wait_storecnt_dscnt 0x0
	s_barrier_signal -1
	s_barrier_wait -1
	s_and_saveexec_b32 s1, s0
	s_cbranch_execz .LBB2_71
; %bb.63:
	v_mov_b32_e32 v2, 0
	s_add_nc_u64 s[0:1], s[12:13], s[26:27]
	s_lshl_b32 s2, s24, 1
	s_mul_i32 s3, s24, 3
	s_mov_b32 s4, 0
	ds_load_b32 v2, v2 offset:260
	s_add_co_i32 s5, s24, s24
                                        ; implicit-def: $sgpr6
	s_wait_dscnt 0x0
	v_div_scale_f32 v3, null, v2, v2, 1.0
	v_div_scale_f32 v6, vcc_lo, 1.0, v2, 1.0
	s_delay_alu instid0(VALU_DEP_2)
	v_rcp_f32_e32 v4, v3
	v_nop
	v_xor_b32_e32 v3, 0x80000000, v3
	s_delay_alu instid0(TRANS32_DEP_1) | instid1(VALU_DEP_1)
	v_fma_f32 v5, v3, v4, 1.0
	s_delay_alu instid0(VALU_DEP_1) | instskip(NEXT) | instid1(VALU_DEP_1)
	v_fmac_f32_e32 v4, v5, v4
	v_mul_f32_e32 v5, v6, v4
	s_delay_alu instid0(VALU_DEP_1) | instskip(NEXT) | instid1(VALU_DEP_1)
	v_fma_f32 v7, v3, v5, v6
	v_fmac_f32_e32 v5, v7, v4
	s_delay_alu instid0(VALU_DEP_1) | instskip(NEXT) | instid1(VALU_DEP_1)
	v_fmac_f32_e32 v6, v3, v5
	v_div_fmas_f32 v3, v6, v4, v5
	s_delay_alu instid0(VALU_DEP_1)
	v_div_fixup_f32 v2, v3, v2, 1.0
	s_branch .LBB2_67
.LBB2_64:                               ;   in Loop: Header=BB2_67 Depth=1
	s_wait_xcnt 0x0
	s_or_b32 exec_lo, exec_lo, s9
	s_delay_alu instid0(SALU_CYCLE_1)
	s_or_not1_b32 s9, s12, exec_lo
.LBB2_65:                               ;   in Loop: Header=BB2_67 Depth=1
	s_or_b32 exec_lo, exec_lo, s8
	s_delay_alu instid0(SALU_CYCLE_1) | instskip(SKIP_1) | instid1(SALU_CYCLE_1)
	s_and_not1_b32 s6, s6, exec_lo
	s_and_b32 s8, s9, exec_lo
	s_or_b32 s6, s6, s8
.LBB2_66:                               ;   in Loop: Header=BB2_67 Depth=1
	s_or_b32 exec_lo, exec_lo, s7
	s_delay_alu instid0(SALU_CYCLE_1) | instskip(NEXT) | instid1(SALU_CYCLE_1)
	s_and_b32 s7, exec_lo, s6
	s_or_b32 s4, s7, s4
	s_delay_alu instid0(SALU_CYCLE_1)
	s_and_not1_b32 exec_lo, exec_lo, s4
	s_cbranch_execz .LBB2_71
.LBB2_67:                               ; =>This Inner Loop Header: Depth=1
	s_clause 0x2
	global_load_b128 v[4:7], v0, s[10:11] scale_offset
	global_load_b128 v[8:11], v0, s[16:17] scale_offset
	;; [unrolled: 1-line block ×3, first 2 shown]
	s_or_b32 s6, s6, exec_lo
	s_mov_b32 s7, exec_lo
	s_wait_loadcnt 0x1
	v_pk_add_f32 v[6:7], v[6:7], v[10:11]
	v_pk_add_f32 v[4:5], v[4:5], v[8:9]
	s_delay_alu instid0(VALU_DEP_1) | instskip(SKIP_1) | instid1(VALU_DEP_1)
	v_dual_mul_f32 v3, v1, v6 :: v_dual_mul_f32 v8, v1, v5
	s_wait_loadcnt 0x0
	v_dual_mul_f32 v9, v1, v4 :: v_dual_mul_f32 v3, v14, v3
	s_delay_alu instid0(VALU_DEP_1) | instskip(NEXT) | instid1(VALU_DEP_2)
	v_dual_mul_f32 v10, v1, v7 :: v_dual_mul_f32 v9, v12, v9
	v_dual_mul_f32 v8, v13, v8 :: v_dual_mul_f32 v3, v2, v3
	s_delay_alu instid0(VALU_DEP_1) | instskip(NEXT) | instid1(VALU_DEP_3)
	v_dual_mul_f32 v10, v15, v10 :: v_dual_mul_f32 v8, v2, v8
	v_mul_f32_e32 v9, v2, v9
	s_delay_alu instid0(VALU_DEP_3) | instskip(NEXT) | instid1(VALU_DEP_3)
	v_rndne_f32_e32 v3, v3
	v_mul_f32_e32 v10, v2, v10
	s_delay_alu instid0(VALU_DEP_4) | instskip(NEXT) | instid1(VALU_DEP_4)
	v_rndne_f32_e32 v8, v8
	v_rndne_f32_e32 v9, v9
	s_delay_alu instid0(VALU_DEP_4) | instskip(NEXT) | instid1(VALU_DEP_4)
	v_cmp_nlt_f32_e32 vcc_lo, 0x42fe0000, v3
	v_rndne_f32_e32 v10, v10
	v_cndmask_b32_e32 v11, 0x42fe0000, v3, vcc_lo
	v_cmp_nlt_f32_e32 vcc_lo, 0x42fe0000, v8
	v_cndmask_b32_e32 v12, 0x42fe0000, v8, vcc_lo
	v_cmp_ngt_f32_e32 vcc_lo, 0xc3000000, v3
	s_delay_alu instid0(VALU_DEP_4) | instskip(SKIP_1) | instid1(VALU_DEP_2)
	v_cndmask_b32_e32 v3, 0xc3000000, v11, vcc_lo
	v_cmp_nlt_f32_e32 vcc_lo, 0x42fe0000, v10
	v_cvt_i32_f32_e32 v3, v3
	v_cndmask_b32_e32 v11, 0x42fe0000, v10, vcc_lo
	v_cmp_ngt_f32_e32 vcc_lo, 0xc3000000, v8
	s_delay_alu instid0(VALU_DEP_3) | instskip(NEXT) | instid1(VALU_DEP_1)
	v_and_b32_e32 v3, 0xff, v3
	v_dual_cndmask_b32 v8, 0xc3000000, v12 :: v_dual_lshlrev_b32 v3, 16, v3
	v_cmp_nlt_f32_e32 vcc_lo, 0x42fe0000, v9
	s_delay_alu instid0(VALU_DEP_2) | instskip(SKIP_2) | instid1(VALU_DEP_3)
	v_cvt_i32_f32_e32 v8, v8
	v_cndmask_b32_e32 v12, 0x42fe0000, v9, vcc_lo
	v_cmp_ngt_f32_e32 vcc_lo, 0xc3000000, v10
	v_and_b32_e32 v8, 0xff, v8
	v_cndmask_b32_e32 v10, 0xc3000000, v11, vcc_lo
	v_cmp_ngt_f32_e32 vcc_lo, 0xc3000000, v9
	s_delay_alu instid0(VALU_DEP_3) | instskip(NEXT) | instid1(VALU_DEP_3)
	v_lshlrev_b32_e32 v8, 8, v8
	v_cvt_i32_f32_e32 v10, v10
	v_cndmask_b32_e32 v9, 0xc3000000, v12, vcc_lo
	s_delay_alu instid0(VALU_DEP_2) | instskip(NEXT) | instid1(VALU_DEP_2)
	v_lshl_or_b32 v10, v10, 24, v3
	v_cvt_i32_f32_e32 v9, v9
	v_add_nc_u32_e32 v3, s24, v0
	s_delay_alu instid0(VALU_DEP_2) | instskip(NEXT) | instid1(VALU_DEP_1)
	v_and_b32_e32 v9, 0xff, v9
	v_or3_b32 v8, v10, v8, v9
	s_clause 0x1
	global_store_b128 v0, v[4:7], s[16:17] scale_offset
	global_store_b32 v0, v8, s[0:1] scale_offset
	s_wait_xcnt 0x0
	v_cmpx_gt_u32_e64 s33, v3
	s_cbranch_execz .LBB2_66
; %bb.68:                               ;   in Loop: Header=BB2_67 Depth=1
	s_clause 0x2
	global_load_b128 v[4:7], v3, s[10:11] scale_offset
	global_load_b128 v[8:11], v3, s[16:17] scale_offset
	;; [unrolled: 1-line block ×3, first 2 shown]
	s_mov_b32 s9, -1
	s_mov_b32 s8, exec_lo
	s_wait_loadcnt 0x1
	v_pk_add_f32 v[10:11], v[6:7], v[10:11]
	v_pk_add_f32 v[8:9], v[4:5], v[8:9]
	s_delay_alu instid0(VALU_DEP_1) | instskip(NEXT) | instid1(VALU_DEP_2)
	v_dual_mul_f32 v4, v1, v10 :: v_dual_mul_f32 v5, v1, v9
	v_dual_mul_f32 v6, v1, v8 :: v_dual_mul_f32 v7, v1, v11
	s_wait_loadcnt 0x0
	s_delay_alu instid0(VALU_DEP_2) | instskip(NEXT) | instid1(VALU_DEP_2)
	v_dual_mul_f32 v4, v14, v4 :: v_dual_mul_f32 v5, v13, v5
	v_dual_mul_f32 v6, v12, v6 :: v_dual_mul_f32 v7, v15, v7
	s_delay_alu instid0(VALU_DEP_2) | instskip(NEXT) | instid1(VALU_DEP_2)
	v_dual_mul_f32 v4, v2, v4 :: v_dual_mul_f32 v5, v2, v5
	v_dual_mul_f32 v6, v2, v6 :: v_dual_mul_f32 v7, v2, v7
	s_delay_alu instid0(VALU_DEP_2) | instskip(NEXT) | instid1(VALU_DEP_3)
	v_rndne_f32_e32 v4, v4
	v_rndne_f32_e32 v5, v5
	s_delay_alu instid0(VALU_DEP_3) | instskip(NEXT) | instid1(VALU_DEP_4)
	v_rndne_f32_e32 v6, v6
	v_rndne_f32_e32 v7, v7
	s_delay_alu instid0(VALU_DEP_4) | instskip(SKIP_4) | instid1(VALU_DEP_4)
	v_cmp_nlt_f32_e32 vcc_lo, 0x42fe0000, v4
	v_cndmask_b32_e32 v12, 0x42fe0000, v4, vcc_lo
	v_cmp_nlt_f32_e32 vcc_lo, 0x42fe0000, v5
	v_cndmask_b32_e32 v13, 0x42fe0000, v5, vcc_lo
	v_cmp_ngt_f32_e32 vcc_lo, 0xc3000000, v4
	v_cndmask_b32_e32 v4, 0xc3000000, v12, vcc_lo
	v_cmp_nlt_f32_e32 vcc_lo, 0x42fe0000, v7
	s_delay_alu instid0(VALU_DEP_2) | instskip(SKIP_2) | instid1(VALU_DEP_3)
	v_cvt_i32_f32_e32 v4, v4
	v_cndmask_b32_e32 v12, 0x42fe0000, v7, vcc_lo
	v_cmp_ngt_f32_e32 vcc_lo, 0xc3000000, v5
	v_and_b32_e32 v4, 0xff, v4
	s_delay_alu instid0(VALU_DEP_1) | instskip(SKIP_1) | instid1(VALU_DEP_2)
	v_dual_cndmask_b32 v5, 0xc3000000, v13 :: v_dual_lshlrev_b32 v4, 16, v4
	v_cmp_nlt_f32_e32 vcc_lo, 0x42fe0000, v6
	v_cvt_i32_f32_e32 v5, v5
	s_delay_alu instid0(VALU_DEP_1)
	v_and_b32_e32 v5, 0xff, v5
	v_cndmask_b32_e32 v13, 0x42fe0000, v6, vcc_lo
	v_cmp_ngt_f32_e32 vcc_lo, 0xc3000000, v7
	v_cndmask_b32_e32 v7, 0xc3000000, v12, vcc_lo
	v_cmp_ngt_f32_e32 vcc_lo, 0xc3000000, v6
	v_dual_lshlrev_b32 v12, 8, v5 :: v_dual_add_nc_u32 v5, s2, v0
	s_delay_alu instid0(VALU_DEP_3) | instskip(SKIP_1) | instid1(VALU_DEP_2)
	v_cvt_i32_f32_e32 v7, v7
	v_cndmask_b32_e32 v6, 0xc3000000, v13, vcc_lo
	v_lshl_or_b32 v4, v7, 24, v4
	s_delay_alu instid0(VALU_DEP_2) | instskip(NEXT) | instid1(VALU_DEP_1)
	v_cvt_i32_f32_e32 v6, v6
	v_and_b32_e32 v6, 0xff, v6
	s_delay_alu instid0(VALU_DEP_1)
	v_or3_b32 v4, v4, v12, v6
	s_clause 0x1
	global_store_b128 v3, v[8:11], s[16:17] scale_offset
	global_store_b32 v3, v4, s[0:1] scale_offset
	s_wait_xcnt 0x0
	v_cmpx_gt_u32_e64 s33, v5
	s_cbranch_execz .LBB2_65
; %bb.69:                               ;   in Loop: Header=BB2_67 Depth=1
	s_clause 0x2
	global_load_b128 v[6:9], v5, s[10:11] scale_offset
	global_load_b128 v[10:13], v5, s[16:17] scale_offset
	;; [unrolled: 1-line block ×3, first 2 shown]
	s_mov_b32 s12, -1
	s_mov_b32 s9, exec_lo
	s_wait_loadcnt 0x1
	v_pk_add_f32 v[8:9], v[8:9], v[12:13]
	v_pk_add_f32 v[6:7], v[6:7], v[10:11]
	s_delay_alu instid0(VALU_DEP_1) | instskip(NEXT) | instid1(VALU_DEP_2)
	v_dual_mul_f32 v4, v1, v8 :: v_dual_mul_f32 v10, v1, v7
	v_dual_mul_f32 v11, v1, v6 :: v_dual_mul_f32 v12, v1, v9
	s_wait_loadcnt 0x0
	s_delay_alu instid0(VALU_DEP_2) | instskip(NEXT) | instid1(VALU_DEP_2)
	v_dual_mul_f32 v4, v16, v4 :: v_dual_mul_f32 v10, v15, v10
	v_dual_mul_f32 v11, v14, v11 :: v_dual_mul_f32 v12, v17, v12
	s_delay_alu instid0(VALU_DEP_2) | instskip(NEXT) | instid1(VALU_DEP_2)
	v_dual_mul_f32 v4, v2, v4 :: v_dual_mul_f32 v10, v2, v10
	v_dual_mul_f32 v11, v2, v11 :: v_dual_mul_f32 v12, v2, v12
	s_delay_alu instid0(VALU_DEP_2) | instskip(NEXT) | instid1(VALU_DEP_3)
	v_rndne_f32_e32 v4, v4
	v_rndne_f32_e32 v10, v10
	s_delay_alu instid0(VALU_DEP_3) | instskip(NEXT) | instid1(VALU_DEP_4)
	v_rndne_f32_e32 v11, v11
	v_rndne_f32_e32 v12, v12
	s_delay_alu instid0(VALU_DEP_4) | instskip(SKIP_4) | instid1(VALU_DEP_4)
	v_cmp_nlt_f32_e32 vcc_lo, 0x42fe0000, v4
	v_cndmask_b32_e32 v13, 0x42fe0000, v4, vcc_lo
	v_cmp_nlt_f32_e32 vcc_lo, 0x42fe0000, v10
	v_cndmask_b32_e32 v14, 0x42fe0000, v10, vcc_lo
	v_cmp_ngt_f32_e32 vcc_lo, 0xc3000000, v4
	v_cndmask_b32_e32 v4, 0xc3000000, v13, vcc_lo
	v_cmp_nlt_f32_e32 vcc_lo, 0x42fe0000, v12
	s_delay_alu instid0(VALU_DEP_2) | instskip(SKIP_2) | instid1(VALU_DEP_3)
	v_cvt_i32_f32_e32 v4, v4
	v_cndmask_b32_e32 v13, 0x42fe0000, v12, vcc_lo
	v_cmp_ngt_f32_e32 vcc_lo, 0xc3000000, v10
	v_and_b32_e32 v4, 0xff, v4
	v_cndmask_b32_e32 v10, 0xc3000000, v14, vcc_lo
	v_cmp_nlt_f32_e32 vcc_lo, 0x42fe0000, v11
	s_delay_alu instid0(VALU_DEP_3) | instskip(NEXT) | instid1(VALU_DEP_3)
	v_lshlrev_b32_e32 v4, 16, v4
	v_cvt_i32_f32_e32 v10, v10
	v_cndmask_b32_e32 v14, 0x42fe0000, v11, vcc_lo
	v_cmp_ngt_f32_e32 vcc_lo, 0xc3000000, v12
	s_delay_alu instid0(VALU_DEP_3) | instskip(NEXT) | instid1(VALU_DEP_1)
	v_and_b32_e32 v10, 0xff, v10
	v_lshlrev_b32_e32 v10, 8, v10
	v_cndmask_b32_e32 v12, 0xc3000000, v13, vcc_lo
	v_cmp_ngt_f32_e32 vcc_lo, 0xc3000000, v11
	s_delay_alu instid0(VALU_DEP_2) | instskip(SKIP_1) | instid1(VALU_DEP_2)
	v_cvt_i32_f32_e32 v12, v12
	v_cndmask_b32_e32 v11, 0xc3000000, v14, vcc_lo
	v_lshl_or_b32 v12, v12, 24, v4
	s_delay_alu instid0(VALU_DEP_2) | instskip(SKIP_1) | instid1(VALU_DEP_2)
	v_cvt_i32_f32_e32 v11, v11
	v_add_nc_u32_e32 v4, s3, v0
	v_and_b32_e32 v11, 0xff, v11
	s_delay_alu instid0(VALU_DEP_1)
	v_or3_b32 v0, v12, v10, v11
	s_clause 0x1
	global_store_b128 v5, v[6:9], s[16:17] scale_offset
	global_store_b32 v5, v0, s[0:1] scale_offset
                                        ; implicit-def: $vgpr0
	s_wait_xcnt 0x0
	v_cmpx_gt_u32_e64 s33, v4
	s_cbranch_execz .LBB2_64
; %bb.70:                               ;   in Loop: Header=BB2_67 Depth=1
	s_clause 0x2
	global_load_b128 v[6:9], v4, s[10:11] scale_offset
	global_load_b128 v[10:13], v4, s[16:17] scale_offset
	;; [unrolled: 1-line block ×3, first 2 shown]
	s_wait_loadcnt 0x1
	v_pk_add_f32 v[8:9], v[8:9], v[12:13]
	v_pk_add_f32 v[6:7], v[6:7], v[10:11]
	s_delay_alu instid0(VALU_DEP_1) | instskip(SKIP_1) | instid1(VALU_DEP_1)
	v_dual_mul_f32 v0, v1, v8 :: v_dual_mul_f32 v5, v1, v7
	s_wait_loadcnt 0x0
	v_dual_mul_f32 v10, v1, v6 :: v_dual_mul_f32 v0, v16, v0
	s_delay_alu instid0(VALU_DEP_1) | instskip(NEXT) | instid1(VALU_DEP_2)
	v_dual_mul_f32 v11, v1, v9 :: v_dual_mul_f32 v10, v14, v10
	v_dual_mul_f32 v5, v15, v5 :: v_dual_mul_f32 v0, v2, v0
	s_delay_alu instid0(VALU_DEP_1) | instskip(NEXT) | instid1(VALU_DEP_3)
	v_dual_mul_f32 v11, v17, v11 :: v_dual_mul_f32 v5, v2, v5
	v_mul_f32_e32 v10, v2, v10
	s_delay_alu instid0(VALU_DEP_3) | instskip(NEXT) | instid1(VALU_DEP_3)
	v_rndne_f32_e32 v0, v0
	v_mul_f32_e32 v11, v2, v11
	s_delay_alu instid0(VALU_DEP_4) | instskip(NEXT) | instid1(VALU_DEP_4)
	v_rndne_f32_e32 v5, v5
	v_rndne_f32_e32 v10, v10
	s_delay_alu instid0(VALU_DEP_4) | instskip(NEXT) | instid1(VALU_DEP_4)
	v_cmp_nlt_f32_e32 vcc_lo, 0x42fe0000, v0
	v_rndne_f32_e32 v11, v11
	v_cndmask_b32_e32 v12, 0x42fe0000, v0, vcc_lo
	v_cmp_nlt_f32_e32 vcc_lo, 0x42fe0000, v5
	v_cndmask_b32_e32 v13, 0x42fe0000, v5, vcc_lo
	v_cmp_ngt_f32_e32 vcc_lo, 0xc3000000, v0
	s_delay_alu instid0(VALU_DEP_4) | instskip(SKIP_1) | instid1(VALU_DEP_2)
	v_cndmask_b32_e32 v0, 0xc3000000, v12, vcc_lo
	v_cmp_nlt_f32_e32 vcc_lo, 0x42fe0000, v11
	v_cvt_i32_f32_e32 v0, v0
	v_cndmask_b32_e32 v12, 0x42fe0000, v11, vcc_lo
	v_cmp_ngt_f32_e32 vcc_lo, 0xc3000000, v5
	s_delay_alu instid0(VALU_DEP_3) | instskip(SKIP_2) | instid1(VALU_DEP_2)
	v_and_b32_e32 v0, 0xff, v0
	v_cndmask_b32_e32 v5, 0xc3000000, v13, vcc_lo
	v_cmp_nlt_f32_e32 vcc_lo, 0x42fe0000, v10
	v_cvt_i32_f32_e32 v5, v5
	v_cndmask_b32_e32 v13, 0x42fe0000, v10, vcc_lo
	v_cmp_ngt_f32_e32 vcc_lo, 0xc3000000, v11
	s_delay_alu instid0(VALU_DEP_3)
	v_and_b32_e32 v5, 0xff, v5
	v_cndmask_b32_e32 v11, 0xc3000000, v12, vcc_lo
	v_cmp_ngt_f32_e32 vcc_lo, 0xc3000000, v10
	v_lshlrev_b32_e32 v12, 16, v0
	v_add3_u32 v0, s5, s24, v3
	v_lshlrev_b32_e32 v3, 8, v5
	v_cvt_i32_f32_e32 v11, v11
	v_cndmask_b32_e32 v10, 0xc3000000, v13, vcc_lo
	s_delay_alu instid0(VALU_DEP_4) | instskip(NEXT) | instid1(VALU_DEP_3)
	v_cmp_le_u32_e32 vcc_lo, s33, v0
	v_lshl_or_b32 v5, v11, 24, v12
	s_delay_alu instid0(VALU_DEP_3) | instskip(SKIP_1) | instid1(VALU_DEP_1)
	v_cvt_i32_f32_e32 v10, v10
	s_or_not1_b32 s12, vcc_lo, exec_lo
	v_and_b32_e32 v10, 0xff, v10
	s_delay_alu instid0(VALU_DEP_1)
	v_or3_b32 v3, v5, v3, v10
	s_clause 0x1
	global_store_b128 v4, v[6:9], s[16:17] scale_offset
	global_store_b32 v4, v3, s[0:1] scale_offset
	s_branch .LBB2_64
.LBB2_71:
	s_endpgm
	.section	.rodata,"a",@progbits
	.p2align	6, 0x0
	.amdhsa_kernel _ZN4vllm39rms_norm_dynamic_per_token_quant_kernelIfaLb1EEEvPT0_PfPKT_S6_PKffiPS4_
		.amdhsa_group_segment_fixed_size 272
		.amdhsa_private_segment_fixed_size 0
		.amdhsa_kernarg_size 312
		.amdhsa_user_sgpr_count 2
		.amdhsa_user_sgpr_dispatch_ptr 0
		.amdhsa_user_sgpr_queue_ptr 0
		.amdhsa_user_sgpr_kernarg_segment_ptr 1
		.amdhsa_user_sgpr_dispatch_id 0
		.amdhsa_user_sgpr_kernarg_preload_length 0
		.amdhsa_user_sgpr_kernarg_preload_offset 0
		.amdhsa_user_sgpr_private_segment_size 0
		.amdhsa_wavefront_size32 1
		.amdhsa_uses_dynamic_stack 0
		.amdhsa_enable_private_segment 0
		.amdhsa_system_sgpr_workgroup_id_x 1
		.amdhsa_system_sgpr_workgroup_id_y 0
		.amdhsa_system_sgpr_workgroup_id_z 0
		.amdhsa_system_sgpr_workgroup_info 0
		.amdhsa_system_vgpr_workitem_id 0
		.amdhsa_next_free_vgpr 26
		.amdhsa_next_free_sgpr 40
		.amdhsa_named_barrier_count 0
		.amdhsa_reserve_vcc 1
		.amdhsa_float_round_mode_32 0
		.amdhsa_float_round_mode_16_64 0
		.amdhsa_float_denorm_mode_32 3
		.amdhsa_float_denorm_mode_16_64 3
		.amdhsa_fp16_overflow 0
		.amdhsa_memory_ordered 1
		.amdhsa_forward_progress 1
		.amdhsa_inst_pref_size 60
		.amdhsa_round_robin_scheduling 0
		.amdhsa_exception_fp_ieee_invalid_op 0
		.amdhsa_exception_fp_denorm_src 0
		.amdhsa_exception_fp_ieee_div_zero 0
		.amdhsa_exception_fp_ieee_overflow 0
		.amdhsa_exception_fp_ieee_underflow 0
		.amdhsa_exception_fp_ieee_inexact 0
		.amdhsa_exception_int_div_zero 0
	.end_amdhsa_kernel
	.section	.text._ZN4vllm39rms_norm_dynamic_per_token_quant_kernelIfaLb1EEEvPT0_PfPKT_S6_PKffiPS4_,"axG",@progbits,_ZN4vllm39rms_norm_dynamic_per_token_quant_kernelIfaLb1EEEvPT0_PfPKT_S6_PKffiPS4_,comdat
.Lfunc_end2:
	.size	_ZN4vllm39rms_norm_dynamic_per_token_quant_kernelIfaLb1EEEvPT0_PfPKT_S6_PKffiPS4_, .Lfunc_end2-_ZN4vllm39rms_norm_dynamic_per_token_quant_kernelIfaLb1EEEvPT0_PfPKT_S6_PKffiPS4_
                                        ; -- End function
	.set _ZN4vllm39rms_norm_dynamic_per_token_quant_kernelIfaLb1EEEvPT0_PfPKT_S6_PKffiPS4_.num_vgpr, 26
	.set _ZN4vllm39rms_norm_dynamic_per_token_quant_kernelIfaLb1EEEvPT0_PfPKT_S6_PKffiPS4_.num_agpr, 0
	.set _ZN4vllm39rms_norm_dynamic_per_token_quant_kernelIfaLb1EEEvPT0_PfPKT_S6_PKffiPS4_.numbered_sgpr, 40
	.set _ZN4vllm39rms_norm_dynamic_per_token_quant_kernelIfaLb1EEEvPT0_PfPKT_S6_PKffiPS4_.num_named_barrier, 0
	.set _ZN4vllm39rms_norm_dynamic_per_token_quant_kernelIfaLb1EEEvPT0_PfPKT_S6_PKffiPS4_.private_seg_size, 0
	.set _ZN4vllm39rms_norm_dynamic_per_token_quant_kernelIfaLb1EEEvPT0_PfPKT_S6_PKffiPS4_.uses_vcc, 1
	.set _ZN4vllm39rms_norm_dynamic_per_token_quant_kernelIfaLb1EEEvPT0_PfPKT_S6_PKffiPS4_.uses_flat_scratch, 0
	.set _ZN4vllm39rms_norm_dynamic_per_token_quant_kernelIfaLb1EEEvPT0_PfPKT_S6_PKffiPS4_.has_dyn_sized_stack, 0
	.set _ZN4vllm39rms_norm_dynamic_per_token_quant_kernelIfaLb1EEEvPT0_PfPKT_S6_PKffiPS4_.has_recursion, 0
	.set _ZN4vllm39rms_norm_dynamic_per_token_quant_kernelIfaLb1EEEvPT0_PfPKT_S6_PKffiPS4_.has_indirect_call, 0
	.section	.AMDGPU.csdata,"",@progbits
; Kernel info:
; codeLenInByte = 7632
; TotalNumSgprs: 42
; NumVgprs: 26
; ScratchSize: 0
; MemoryBound: 0
; FloatMode: 240
; IeeeMode: 1
; LDSByteSize: 272 bytes/workgroup (compile time only)
; SGPRBlocks: 0
; VGPRBlocks: 1
; NumSGPRsForWavesPerEU: 42
; NumVGPRsForWavesPerEU: 26
; NamedBarCnt: 0
; Occupancy: 16
; WaveLimiterHint : 0
; COMPUTE_PGM_RSRC2:SCRATCH_EN: 0
; COMPUTE_PGM_RSRC2:USER_SGPR: 2
; COMPUTE_PGM_RSRC2:TRAP_HANDLER: 0
; COMPUTE_PGM_RSRC2:TGID_X_EN: 1
; COMPUTE_PGM_RSRC2:TGID_Y_EN: 0
; COMPUTE_PGM_RSRC2:TGID_Z_EN: 0
; COMPUTE_PGM_RSRC2:TIDIG_COMP_CNT: 0
	.section	.text._ZN4vllm39rms_norm_dynamic_per_token_quant_kernelIfN3c1013Float8_e4m3fnELb0EEEvPT0_PfPKT_S8_PKffiPS6_,"axG",@progbits,_ZN4vllm39rms_norm_dynamic_per_token_quant_kernelIfN3c1013Float8_e4m3fnELb0EEEvPT0_PfPKT_S8_PKffiPS6_,comdat
	.protected	_ZN4vllm39rms_norm_dynamic_per_token_quant_kernelIfN3c1013Float8_e4m3fnELb0EEEvPT0_PfPKT_S8_PKffiPS6_ ; -- Begin function _ZN4vllm39rms_norm_dynamic_per_token_quant_kernelIfN3c1013Float8_e4m3fnELb0EEEvPT0_PfPKT_S8_PKffiPS6_
	.globl	_ZN4vllm39rms_norm_dynamic_per_token_quant_kernelIfN3c1013Float8_e4m3fnELb0EEEvPT0_PfPKT_S8_PKffiPS6_
	.p2align	8
	.type	_ZN4vllm39rms_norm_dynamic_per_token_quant_kernelIfN3c1013Float8_e4m3fnELb0EEEvPT0_PfPKT_S8_PKffiPS6_,@function
_ZN4vllm39rms_norm_dynamic_per_token_quant_kernelIfN3c1013Float8_e4m3fnELb0EEEvPT0_PfPKT_S8_PKffiPS6_: ; @_ZN4vllm39rms_norm_dynamic_per_token_quant_kernelIfN3c1013Float8_e4m3fnELb0EEEvPT0_PfPKT_S8_PKffiPS6_
; %bb.0:
	s_clause 0x1
	s_load_b128 s[20:23], s[0:1], 0x20
	s_load_b256 s[12:19], s[0:1], 0x0
	s_getreg_b32 s26, hwreg(HW_REG_IB_STS2, 6, 4)
	s_wait_kmcnt 0x0
	s_and_b32 s2, s23, 3
	s_delay_alu instid0(SALU_CYCLE_1)
	s_cmp_lg_u32 s2, 0
	s_cbranch_scc0 .LBB3_37
; %bb.1:
	s_bfe_u32 s2, ttmp6, 0x4000c
	s_and_b32 s3, ttmp6, 15
	s_add_co_i32 s2, s2, 1
	s_delay_alu instid0(SALU_CYCLE_1)
	s_mul_i32 s4, ttmp9, s2
	v_cmp_gt_u32_e64 s2, s23, v0
	s_add_co_i32 s4, s3, s4
	v_cmp_le_u32_e64 s3, s23, v0
	s_cmp_eq_u32 s26, 0
	s_cselect_b32 s24, ttmp9, s4
                                        ; implicit-def: $sgpr4_sgpr5
	s_and_saveexec_b32 s6, s3
	s_delay_alu instid0(SALU_CYCLE_1)
	s_xor_b32 s6, exec_lo, s6
; %bb.2:
	s_add_nc_u64 s[4:5], s[0:1], 56
; %bb.3:
	s_or_saveexec_b32 s8, s6
	v_mov_b64_e32 v[2:3], s[4:5]
	v_mov_b32_e32 v4, 0
	s_xor_b32 exec_lo, exec_lo, s8
	s_cbranch_execz .LBB3_7
; %bb.4:
	s_load_b32 s9, s[0:1], 0x44
	s_ashr_i32 s5, s23, 31
	s_mov_b32 s4, s23
	s_mov_b32 s25, 0
	v_dual_mov_b32 v4, 0 :: v_dual_mov_b32 v1, v0
	s_mul_u64 s[4:5], s[4:5], s[24:25]
	s_delay_alu instid0(SALU_CYCLE_1) | instskip(NEXT) | instid1(SALU_CYCLE_1)
	s_lshl_b64 s[4:5], s[4:5], 2
	s_add_nc_u64 s[6:7], s[16:17], s[4:5]
	s_add_nc_u64 s[4:5], s[0:1], 56
	s_wait_kmcnt 0x0
	s_and_b32 s9, s9, 0xffff
.LBB3_5:                                ; =>This Inner Loop Header: Depth=1
	global_load_b32 v2, v1, s[6:7] scale_offset
	s_wait_loadcnt 0x0
	v_dual_fmac_f32 v4, v2, v2 :: v_dual_add_nc_u32 v1, s9, v1
	s_delay_alu instid0(VALU_DEP_1) | instskip(SKIP_1) | instid1(SALU_CYCLE_1)
	v_cmp_le_u32_e32 vcc_lo, s23, v1
	s_or_b32 s25, vcc_lo, s25
	s_and_not1_b32 exec_lo, exec_lo, s25
	s_cbranch_execnz .LBB3_5
; %bb.6:
	s_or_b32 exec_lo, exec_lo, s25
	v_mov_b64_e32 v[2:3], s[4:5]
.LBB3_7:
	s_or_b32 exec_lo, exec_lo, s8
	global_load_b32 v1, v[2:3], off
	v_mov_b32_e32 v7, 0
	v_and_b32_e32 v10, 0x3c0, v0
	s_wait_loadcnt 0x0
	v_cmp_lt_u32_e32 vcc_lo, s24, v1
	v_mbcnt_lo_u32_b32 v1, -1, 0
	v_cndmask_b32_e64 v6, 18, 12, vcc_lo
	s_delay_alu instid0(VALU_DEP_2) | instskip(SKIP_2) | instid1(VALU_DEP_4)
	v_cmp_ne_u32_e32 vcc_lo, 63, v1
	v_cmp_eq_u32_e64 s4, 0, v1
	v_dual_add_nc_u32 v13, 2, v1 :: v_dual_add_nc_u32 v15, 4, v1
	v_add_nc_u64_e32 v[2:3], v[2:3], v[6:7]
	v_dual_add_nc_u32 v18, 8, v1 :: v_dual_add_nc_u32 v17, 16, v1
	v_dual_lshlrev_b32 v7, 2, v1 :: v_dual_bitop2_b32 v19, 32, v1 bitop3:0x54
	global_load_u16 v2, v[2:3], off
	s_wait_xcnt 0x0
	v_add_co_ci_u32_e64 v3, null, 0, v1, vcc_lo
	v_cmp_gt_u32_e32 vcc_lo, 62, v1
	s_delay_alu instid0(VALU_DEP_2)
	v_lshlrev_b32_e32 v9, 2, v3
	v_cndmask_b32_e64 v5, 0, 2, vcc_lo
	ds_bpermute_b32 v3, v9, v4
	v_add_nc_u32_e32 v8, 1, v1
	v_add_lshl_u32 v11, v5, v1, 2
	s_wait_dscnt 0x0
	v_add_f32_e32 v3, v4, v3
	s_wait_loadcnt 0x0
	v_sub_nc_u32_e64 v6, v2, v10 clamp
	s_delay_alu instid0(VALU_DEP_1) | instskip(NEXT) | instid1(VALU_DEP_3)
	v_cmp_lt_u32_e32 vcc_lo, v8, v6
	v_cndmask_b32_e32 v3, v4, v3, vcc_lo
	v_cmp_gt_u32_e32 vcc_lo, 60, v1
	ds_bpermute_b32 v4, v11, v3
	v_cndmask_b32_e64 v5, 0, 4, vcc_lo
	v_cmp_lt_u32_e32 vcc_lo, v13, v6
	s_delay_alu instid0(VALU_DEP_2) | instskip(SKIP_2) | instid1(VALU_DEP_1)
	v_add_lshl_u32 v12, v5, v1, 2
	s_wait_dscnt 0x0
	v_add_f32_e32 v4, v3, v4
	v_cndmask_b32_e32 v3, v3, v4, vcc_lo
	v_cmp_gt_u32_e32 vcc_lo, 56, v1
	ds_bpermute_b32 v4, v12, v3
	v_cndmask_b32_e64 v5, 0, 8, vcc_lo
	v_cmp_lt_u32_e32 vcc_lo, v15, v6
	s_delay_alu instid0(VALU_DEP_2) | instskip(SKIP_2) | instid1(VALU_DEP_1)
	v_add_lshl_u32 v14, v5, v1, 2
	s_wait_dscnt 0x0
	v_add_f32_e32 v4, v3, v4
	;; [unrolled: 9-line block ×3, first 2 shown]
	v_cndmask_b32_e32 v3, v3, v4, vcc_lo
	v_cmp_lt_u32_e32 vcc_lo, v17, v6
	ds_bpermute_b32 v4, v16, v3
	s_wait_dscnt 0x0
	v_add_f32_e32 v4, v3, v4
	s_delay_alu instid0(VALU_DEP_1) | instskip(SKIP_4) | instid1(VALU_DEP_1)
	v_cndmask_b32_e32 v3, v3, v4, vcc_lo
	v_cmp_lt_u32_e32 vcc_lo, v19, v6
	ds_bpermute_b32 v4, v7, v3 offset:128
	s_wait_dscnt 0x0
	v_add_f32_e32 v4, v3, v4
	v_cndmask_b32_e32 v3, v3, v4, vcc_lo
	s_and_saveexec_b32 s5, s4
; %bb.8:
	v_lshrrev_b32_e32 v4, 4, v0
	s_delay_alu instid0(VALU_DEP_1)
	v_and_b32_e32 v4, 60, v4
	ds_store_b32 v4, v3 offset:128
; %bb.9:
	s_or_b32 exec_lo, exec_lo, s5
	v_cmp_gt_u32_e64 s5, 16, v0
	v_and_b32_e32 v4, 15, v1
	v_or_b32_e32 v5, 32, v7
	s_wait_dscnt 0x0
	s_barrier_signal -1
	s_barrier_wait -1
	s_and_saveexec_b32 s7, s5
	s_cbranch_execz .LBB3_11
; %bb.10:
	ds_load_b32 v3, v7 offset:128
	v_cmp_ne_u32_e32 vcc_lo, 15, v4
	v_add_nc_u32_e32 v2, 63, v2
	v_cmp_gt_u32_e64 s6, 12, v4
	v_add_nc_u32_e32 v20, 1, v4
	v_add_co_ci_u32_e64 v6, null, 0, v1, vcc_lo
	v_cmp_gt_u32_e32 vcc_lo, 14, v4
	v_lshrrev_b32_e32 v2, 6, v2
	v_cndmask_b32_e64 v22, 0, 4, s6
	s_delay_alu instid0(VALU_DEP_4) | instskip(SKIP_1) | instid1(VALU_DEP_4)
	v_lshlrev_b32_e32 v6, 2, v6
	v_cndmask_b32_e64 v21, 0, 2, vcc_lo
	v_cmp_lt_u32_e32 vcc_lo, v20, v2
	s_delay_alu instid0(VALU_DEP_2) | instskip(SKIP_4) | instid1(VALU_DEP_1)
	v_add_lshl_u32 v21, v21, v1, 2
	s_wait_dscnt 0x0
	ds_bpermute_b32 v6, v6, v3
	s_wait_dscnt 0x0
	v_add_f32_e32 v6, v3, v6
	v_cndmask_b32_e32 v6, v3, v6, vcc_lo
	ds_bpermute_b32 v20, v21, v6
	v_add_nc_u32_e32 v21, 2, v4
	s_wait_dscnt 0x0
	v_add_f32_e32 v20, v6, v20
	s_delay_alu instid0(VALU_DEP_2) | instskip(SKIP_1) | instid1(VALU_DEP_2)
	v_cmp_lt_u32_e64 s6, v21, v2
	v_add_nc_u32_e32 v21, 4, v4
	v_cndmask_b32_e64 v6, v6, v20, s6
	v_add_lshl_u32 v20, v22, v1, 2
	s_delay_alu instid0(VALU_DEP_3) | instskip(SKIP_4) | instid1(VALU_DEP_1)
	v_cmp_lt_u32_e64 s6, v21, v2
	v_add_nc_u32_e32 v21, 8, v4
	ds_bpermute_b32 v20, v20, v6
	s_wait_dscnt 0x0
	v_add_f32_e32 v20, v6, v20
	v_cndmask_b32_e64 v6, v6, v20, s6
	v_cmp_lt_u32_e64 s6, v21, v2
	ds_bpermute_b32 v20, v5, v6
	s_wait_dscnt 0x0
	v_add_f32_e32 v20, v6, v20
	s_delay_alu instid0(VALU_DEP_1) | instskip(NEXT) | instid1(VALU_DEP_1)
	v_cndmask_b32_e64 v2, v6, v20, s6
	v_cndmask_b32_e32 v3, v3, v2, vcc_lo
.LBB3_11:
	s_or_b32 exec_lo, exec_lo, s7
	v_cmp_eq_u32_e64 s6, 0, v0
	s_mov_b32 s25, 0
	s_and_saveexec_b32 s7, s6
	s_cbranch_execz .LBB3_13
; %bb.12:
	s_cvt_f32_i32 s8, s23
	s_delay_alu instid0(SALU_CYCLE_3) | instskip(SKIP_1) | instid1(VALU_DEP_2)
	v_div_scale_f32 v2, null, s8, s8, v3
	v_div_scale_f32 v21, vcc_lo, v3, s8, v3
	v_rcp_f32_e32 v6, v2
	v_nop
	s_delay_alu instid0(TRANS32_DEP_1) | instskip(NEXT) | instid1(VALU_DEP_1)
	v_fma_f32 v20, -v2, v6, 1.0
	v_fmac_f32_e32 v6, v20, v6
	s_delay_alu instid0(VALU_DEP_1) | instskip(NEXT) | instid1(VALU_DEP_1)
	v_mul_f32_e32 v20, v21, v6
	v_fma_f32 v22, -v2, v20, v21
	s_delay_alu instid0(VALU_DEP_1) | instskip(NEXT) | instid1(VALU_DEP_1)
	v_fmac_f32_e32 v20, v22, v6
	v_fma_f32 v2, -v2, v20, v21
	s_delay_alu instid0(VALU_DEP_1) | instskip(NEXT) | instid1(VALU_DEP_1)
	v_div_fmas_f32 v2, v2, v6, v20
	v_div_fixup_f32 v2, v2, s8, v3
	s_delay_alu instid0(VALU_DEP_1) | instskip(NEXT) | instid1(VALU_DEP_1)
	v_add_f32_e32 v2, s22, v2
	v_mul_f32_e32 v3, 0x4b800000, v2
	v_cmp_gt_f32_e32 vcc_lo, 0x800000, v2
	s_delay_alu instid0(VALU_DEP_2) | instskip(NEXT) | instid1(VALU_DEP_1)
	v_cndmask_b32_e32 v2, v2, v3, vcc_lo
	v_rsq_f32_e32 v2, v2
	v_nop
	s_delay_alu instid0(TRANS32_DEP_1) | instskip(NEXT) | instid1(VALU_DEP_1)
	v_mul_f32_e32 v3, 0x45800000, v2
	v_dual_cndmask_b32 v2, v2, v3 :: v_dual_mov_b32 v3, 0
	ds_store_b32 v3, v2 offset:264
.LBB3_13:
	s_or_b32 exec_lo, exec_lo, s7
	v_mov_b32_e32 v20, 0
	s_wait_dscnt 0x0
	s_barrier_signal -1
	s_barrier_wait -1
	ds_load_b32 v6, v20 offset:264
                                        ; implicit-def: $sgpr8_sgpr9
	s_and_saveexec_b32 s7, s3
	s_delay_alu instid0(SALU_CYCLE_1)
	s_xor_b32 s3, exec_lo, s7
; %bb.14:
	s_add_nc_u64 s[8:9], s[0:1], 56
; %bb.15:
	s_or_saveexec_b32 s3, s3
	v_mov_b64_e32 v[2:3], s[8:9]
	s_xor_b32 exec_lo, exec_lo, s3
	s_cbranch_execz .LBB3_19
; %bb.16:
	s_load_b32 s7, s[0:1], 0x44
	s_ashr_i32 s11, s23, 31
	s_mov_b32 s10, s23
	v_dual_mov_b32 v20, 0 :: v_dual_mov_b32 v2, v0
	s_mul_u64 s[10:11], s[10:11], s[24:25]
	s_add_nc_u64 s[8:9], s[0:1], 56
	s_lshl_b64 s[10:11], s[10:11], 2
	s_delay_alu instid0(SALU_CYCLE_1)
	s_add_nc_u64 s[10:11], s[16:17], s[10:11]
	s_wait_kmcnt 0x0
	s_and_b32 s27, s7, 0xffff
	s_mov_b32 s7, 0
.LBB3_17:                               ; =>This Inner Loop Header: Depth=1
	s_clause 0x1
	global_load_b32 v3, v2, s[10:11] scale_offset
	global_load_b32 v21, v2, s[18:19] scale_offset
	s_wait_xcnt 0x0
	v_add_nc_u32_e32 v2, s27, v2
	s_delay_alu instid0(VALU_DEP_1) | instskip(SKIP_4) | instid1(VALU_DEP_1)
	v_cmp_le_u32_e32 vcc_lo, s23, v2
	s_or_b32 s7, vcc_lo, s7
	s_wait_loadcnt_dscnt 0x100
	v_dual_mul_f32 v3, v6, v3 :: v_dual_max_num_f32 v20, v20, v20
	s_wait_loadcnt 0x0
	v_mul_f32_e32 v3, v3, v21
	s_delay_alu instid0(VALU_DEP_1)
	v_max_num_f32_e64 v20, v20, |v3|
	s_and_not1_b32 exec_lo, exec_lo, s7
	s_cbranch_execnz .LBB3_17
; %bb.18:
	s_or_b32 exec_lo, exec_lo, s7
	v_mov_b64_e32 v[2:3], s[8:9]
.LBB3_19:
	s_or_b32 exec_lo, exec_lo, s3
	global_load_b32 v22, v[2:3], off
	v_mov_b32_e32 v23, 0
	v_or_b32_e32 v21, 0x80, v7
	s_wait_loadcnt 0x0
	v_cmp_lt_u32_e32 vcc_lo, s24, v22
	v_cndmask_b32_e64 v22, 18, 12, vcc_lo
	s_delay_alu instid0(VALU_DEP_1)
	v_add_nc_u64_e32 v[2:3], v[2:3], v[22:23]
	global_load_u16 v2, v[2:3], off
	s_wait_xcnt 0x0
	ds_bpermute_b32 v3, v9, v20
	s_wait_dscnt 0x0
	v_cmp_lt_f32_e32 vcc_lo, v20, v3
	v_cndmask_b32_e32 v3, v20, v3, vcc_lo
	s_wait_loadcnt 0x0
	v_sub_nc_u32_e64 v9, v2, v10 clamp
	s_delay_alu instid0(VALU_DEP_1)
	v_cmp_lt_u32_e32 vcc_lo, v8, v9
	v_cmp_lt_u32_e64 s10, v19, v9
	v_cndmask_b32_e32 v3, v20, v3, vcc_lo
	ds_bpermute_b32 v8, v11, v3
	s_wait_dscnt 0x0
	v_cmp_lt_f32_e64 s3, v3, v8
	s_delay_alu instid0(VALU_DEP_1) | instskip(SKIP_1) | instid1(VALU_DEP_1)
	v_cndmask_b32_e64 v8, v3, v8, s3
	v_cmp_lt_u32_e64 s3, v13, v9
	v_cndmask_b32_e64 v3, v3, v8, s3
	s_or_b32 s3, vcc_lo, s3
	ds_bpermute_b32 v8, v12, v3
	s_wait_dscnt 0x0
	v_cmp_lt_f32_e64 s7, v3, v8
	s_delay_alu instid0(VALU_DEP_1) | instskip(SKIP_1) | instid1(VALU_DEP_1)
	v_cndmask_b32_e64 v8, v3, v8, s7
	v_cmp_lt_u32_e64 s7, v15, v9
	v_cndmask_b32_e64 v3, v3, v8, s7
	s_or_b32 s3, s7, s3
	ds_bpermute_b32 v8, v14, v3
	s_wait_dscnt 0x0
	v_cmp_lt_f32_e64 s8, v3, v8
	s_delay_alu instid0(VALU_DEP_1) | instskip(SKIP_1) | instid1(VALU_DEP_1)
	v_cndmask_b32_e64 v8, v3, v8, s8
	v_cmp_lt_u32_e64 s8, v18, v9
	v_cndmask_b32_e64 v3, v3, v8, s8
	s_or_b32 s3, s8, s3
	;; [unrolled: 8-line block ×3, first 2 shown]
	ds_bpermute_b32 v8, v21, v3
	s_wait_dscnt 0x0
	v_cmp_lt_f32_e32 vcc_lo, v3, v8
	s_and_b32 vcc_lo, s10, vcc_lo
	v_cndmask_b32_e32 v3, v3, v8, vcc_lo
	s_or_b32 vcc_lo, s10, s3
	s_delay_alu instid0(VALU_DEP_1)
	v_cndmask_b32_e32 v3, v20, v3, vcc_lo
	s_and_saveexec_b32 s3, s4
; %bb.20:
	v_lshrrev_b32_e32 v8, 4, v0
	s_delay_alu instid0(VALU_DEP_1)
	v_and_b32_e32 v8, 60, v8
	ds_store_b32 v8, v3 offset:192
; %bb.21:
	s_or_b32 exec_lo, exec_lo, s3
	s_wait_dscnt 0x0
	s_barrier_signal -1
	s_barrier_wait -1
	s_and_saveexec_b32 s7, s5
	s_cbranch_execz .LBB3_23
; %bb.22:
	ds_load_b32 v3, v7 offset:192
	v_cmp_ne_u32_e32 vcc_lo, 15, v4
	v_cmp_gt_u32_e64 s3, 12, v4
	v_dual_add_nc_u32 v2, 63, v2 :: v_dual_add_nc_u32 v8, 1, v4
	v_add_co_ci_u32_e64 v7, null, 0, v1, vcc_lo
	v_cmp_gt_u32_e32 vcc_lo, 14, v4
	s_delay_alu instid0(VALU_DEP_4) | instskip(NEXT) | instid1(VALU_DEP_3)
	v_cndmask_b32_e64 v10, 0, 4, s3
	v_dual_lshrrev_b32 v2, 6, v2 :: v_dual_lshlrev_b32 v7, 2, v7
	v_cndmask_b32_e64 v9, 0, 2, vcc_lo
	s_delay_alu instid0(VALU_DEP_1) | instskip(NEXT) | instid1(VALU_DEP_4)
	v_add_lshl_u32 v9, v9, v1, 2
	v_add_lshl_u32 v1, v10, v1, 2
	s_wait_dscnt 0x0
	ds_bpermute_b32 v7, v7, v3
	s_wait_dscnt 0x0
	v_cmp_lt_f32_e32 vcc_lo, v3, v7
	v_cndmask_b32_e32 v7, v3, v7, vcc_lo
	v_cmp_lt_u32_e32 vcc_lo, v8, v2
	s_delay_alu instid0(VALU_DEP_2) | instskip(SKIP_4) | instid1(VALU_DEP_1)
	v_cndmask_b32_e32 v7, v3, v7, vcc_lo
	ds_bpermute_b32 v8, v9, v7
	v_add_nc_u32_e32 v9, 2, v4
	s_wait_dscnt 0x0
	v_cmp_lt_f32_e64 s3, v7, v8
	v_cndmask_b32_e64 v8, v7, v8, s3
	s_delay_alu instid0(VALU_DEP_3) | instskip(NEXT) | instid1(VALU_DEP_1)
	v_cmp_lt_u32_e64 s3, v9, v2
	v_cndmask_b32_e64 v7, v7, v8, s3
	v_dual_add_nc_u32 v8, 4, v4 :: v_dual_add_nc_u32 v4, 8, v4
	ds_bpermute_b32 v1, v1, v7
	s_wait_dscnt 0x0
	v_cmp_lt_f32_e64 s3, v7, v1
	s_delay_alu instid0(VALU_DEP_1) | instskip(SKIP_1) | instid1(VALU_DEP_1)
	v_cndmask_b32_e64 v1, v7, v1, s3
	v_cmp_lt_u32_e64 s3, v8, v2
	v_cndmask_b32_e64 v1, v7, v1, s3
	v_cmp_lt_u32_e64 s3, v4, v2
	ds_bpermute_b32 v5, v5, v1
	s_wait_dscnt 0x0
	v_cmp_lt_f32_e64 s4, v1, v5
	s_and_b32 s3, s3, s4
	s_delay_alu instid0(SALU_CYCLE_1) | instskip(NEXT) | instid1(VALU_DEP_1)
	v_cndmask_b32_e64 v1, v1, v5, s3
	v_cndmask_b32_e32 v3, v3, v1, vcc_lo
.LBB3_23:
	s_or_b32 exec_lo, exec_lo, s7
	s_and_saveexec_b32 s3, s6
	s_cbranch_execz .LBB3_27
; %bb.24:
	s_cmp_eq_u64 s[20:21], 0
	s_cbranch_scc1 .LBB3_26
; %bb.25:
	s_load_b32 s4, s[20:21], 0x0
	v_max_num_f32_e32 v1, v3, v3
	s_wait_kmcnt 0x0
	v_max_num_f32_e64 v2, s4, s4
	s_delay_alu instid0(VALU_DEP_1)
	v_min_num_f32_e32 v3, v1, v2
.LBB3_26:
	s_delay_alu instid0(VALU_DEP_1)
	v_div_scale_f32 v1, null, 0x43e00000, 0x43e00000, v3
	v_div_scale_f32 v5, vcc_lo, v3, 0x43e00000, v3
	s_lshl_b64 s[4:5], s[24:25], 2
	v_rcp_f32_e32 v2, v1
	s_add_nc_u64 s[4:5], s[14:15], s[4:5]
	v_nop
	s_delay_alu instid0(TRANS32_DEP_1) | instskip(NEXT) | instid1(VALU_DEP_1)
	v_fma_f32 v4, -v1, v2, 1.0
	v_fmac_f32_e32 v2, v4, v2
	s_delay_alu instid0(VALU_DEP_1) | instskip(NEXT) | instid1(VALU_DEP_1)
	v_mul_f32_e32 v4, v5, v2
	v_fma_f32 v7, -v1, v4, v5
	s_delay_alu instid0(VALU_DEP_1) | instskip(NEXT) | instid1(VALU_DEP_1)
	v_fmac_f32_e32 v4, v7, v2
	v_fma_f32 v1, -v1, v4, v5
	s_delay_alu instid0(VALU_DEP_1) | instskip(SKIP_1) | instid1(VALU_DEP_2)
	v_div_fmas_f32 v1, v1, v2, v4
	v_mov_b32_e32 v2, 0
	v_div_fixup_f32 v1, v1, 0x43e00000, v3
	s_delay_alu instid0(VALU_DEP_1)
	v_max_num_f32_e32 v1, 0x36924925, v1
	ds_store_b32 v2, v1 offset:268
	global_store_b32 v2, v1, s[4:5]
.LBB3_27:
	s_wait_xcnt 0x0
	s_or_b32 exec_lo, exec_lo, s3
	s_wait_storecnt_dscnt 0x0
	s_barrier_signal -1
	s_barrier_wait -1
	s_and_saveexec_b32 s4, s2
	s_cbranch_execz .LBB3_36
; %bb.28:
	v_dual_mov_b32 v3, 0 :: v_dual_mov_b32 v2, v0
	s_load_b32 s5, s[0:1], 0x44
	s_ashr_i32 s3, s23, 31
	s_mov_b32 s2, s23
	ds_load_b32 v1, v3 offset:268
	s_mul_u64 s[2:3], s[2:3], s[24:25]
	s_mov_b32 s6, 0
	s_mov_b32 s7, 0x43e00000
	s_wait_kmcnt 0x0
	s_and_b32 s5, s5, 0xffff
	s_branch .LBB3_31
.LBB3_29:                               ;   in Loop: Header=BB3_31 Depth=1
	s_or_b32 exec_lo, exec_lo, s9
.LBB3_30:                               ;   in Loop: Header=BB3_31 Depth=1
	s_delay_alu instid0(SALU_CYCLE_1) | instskip(SKIP_2) | instid1(VALU_DEP_2)
	s_or_b32 exec_lo, exec_lo, s8
	v_dual_add_nc_u32 v2, s5, v2 :: v_dual_lshrrev_b32 v7, 24, v7
	v_add_nc_u64_e32 v[4:5], s[12:13], v[4:5]
	v_cmp_le_u32_e32 vcc_lo, s23, v2
	s_delay_alu instid0(VALU_DEP_3)
	v_and_or_b32 v7, 0x80, v7, v8
	s_or_b32 s6, vcc_lo, s6
	global_store_b8 v[4:5], v7, off
	s_wait_xcnt 0x0
	s_and_not1_b32 exec_lo, exec_lo, s6
	s_cbranch_execz .LBB3_36
.LBB3_31:                               ; =>This Inner Loop Header: Depth=1
	v_add_nc_u64_e32 v[4:5], s[2:3], v[2:3]
	s_mov_b32 s8, exec_lo
	s_delay_alu instid0(VALU_DEP_1)
	v_lshl_add_u64 v[8:9], v[4:5], 2, s[16:17]
	global_load_b32 v7, v[8:9], off
	global_load_b32 v10, v2, s[18:19] scale_offset
	s_wait_loadcnt 0x1
	v_mul_f32_e32 v7, v6, v7
	s_wait_loadcnt 0x0
	s_delay_alu instid0(VALU_DEP_1) | instskip(SKIP_2) | instid1(VALU_DEP_1)
	v_mul_f32_e32 v7, v7, v10
	s_wait_dscnt 0x0
	s_wait_xcnt 0x1
	v_div_scale_f32 v8, null, v1, v1, v7
	s_delay_alu instid0(VALU_DEP_1) | instskip(SKIP_1) | instid1(TRANS32_DEP_1)
	v_rcp_f32_e32 v9, v8
	v_nop
	v_fma_f32 v10, -v8, v9, 1.0
	s_delay_alu instid0(VALU_DEP_1) | instskip(SKIP_1) | instid1(VALU_DEP_1)
	v_fmac_f32_e32 v9, v10, v9
	v_div_scale_f32 v11, vcc_lo, v7, v1, v7
	v_mul_f32_e32 v10, v11, v9
	s_delay_alu instid0(VALU_DEP_1) | instskip(NEXT) | instid1(VALU_DEP_1)
	v_fma_f32 v12, -v8, v10, v11
	v_fmac_f32_e32 v10, v12, v9
	s_delay_alu instid0(VALU_DEP_1) | instskip(NEXT) | instid1(VALU_DEP_1)
	v_fma_f32 v8, -v8, v10, v11
	v_div_fmas_f32 v8, v8, v9, v10
	s_delay_alu instid0(VALU_DEP_1) | instskip(SKIP_1) | instid1(VALU_DEP_2)
	v_div_fixup_f32 v7, v8, v1, v7
	v_mov_b32_e32 v8, 0x7f
	v_minmax_num_f32 v7, v7, s7, 0xc3e00000
	s_delay_alu instid0(VALU_DEP_1) | instskip(SKIP_1) | instid1(VALU_DEP_1)
	v_and_b32_e32 v9, 0x7fffffff, v7
	s_wait_xcnt 0x0
	v_cmpx_gt_u32_e32 0x43f00000, v9
	s_cbranch_execz .LBB3_30
; %bb.32:                               ;   in Loop: Header=BB3_31 Depth=1
	s_mov_b32 s9, exec_lo
                                        ; implicit-def: $vgpr8
	v_cmpx_lt_u32_e32 0x3c7fffff, v9
	s_xor_b32 s9, exec_lo, s9
; %bb.33:                               ;   in Loop: Header=BB3_31 Depth=1
	v_bfe_u32 v8, v7, 20, 1
	s_delay_alu instid0(VALU_DEP_1) | instskip(NEXT) | instid1(VALU_DEP_1)
	v_add3_u32 v8, v7, v8, 0x407ffff
	v_lshrrev_b32_e32 v8, 20, v8
; %bb.34:                               ;   in Loop: Header=BB3_31 Depth=1
	s_and_not1_saveexec_b32 s9, s9
	s_cbranch_execz .LBB3_29
; %bb.35:                               ;   in Loop: Header=BB3_31 Depth=1
	v_add_f32_e64 v8, 0x46800000, |v7|
	s_branch .LBB3_29
.LBB3_36:
	s_or_b32 exec_lo, exec_lo, s4
	s_branch .LBB3_177
.LBB3_37:
	s_cbranch_execz .LBB3_177
; %bb.38:
	s_load_b32 s3, s[0:1], 0x38
	s_bfe_u32 s2, ttmp6, 0x4000c
	s_and_b32 s4, ttmp6, 15
	s_add_co_i32 s2, s2, 1
	s_mov_b32 s27, 0
	s_mul_i32 s2, ttmp9, s2
	v_mov_b32_e32 v2, 0
	s_add_co_i32 s4, s4, s2
	s_cmp_eq_u32 s26, 0
	s_wait_xcnt 0x0
	s_add_nc_u64 s[0:1], s[0:1], 56
	s_cselect_b32 s26, ttmp9, s4
	s_ashr_i32 s5, s23, 31
	s_mov_b32 s4, s23
	s_ashr_i32 s28, s23, 2
	s_mul_u64 s[24:25], s[4:5], s[26:27]
	v_cmp_gt_u32_e64 s2, s28, v0
	s_lshl_b64 s[4:5], s[24:25], 2
	s_delay_alu instid0(SALU_CYCLE_1)
	s_add_nc_u64 s[10:11], s[16:17], s[4:5]
	s_and_saveexec_b32 s4, s2
	s_cbranch_execz .LBB3_48
; %bb.39:
	s_wait_kmcnt 0x0
	s_cmp_lt_u32 s26, s3
	s_mov_b32 s7, s27
	s_cselect_b32 s6, 12, 18
	v_dual_mov_b32 v2, 0 :: v_dual_mov_b32 v1, v0
	s_add_nc_u64 s[6:7], s[0:1], s[6:7]
	s_mov_b32 s8, s27
	s_load_u16 s5, s[6:7], 0x0
                                        ; implicit-def: $sgpr16
	s_wait_kmcnt 0x0
	s_lshl_b32 s6, s5, 1
	s_mul_i32 s7, s5, 3
	s_add_co_i32 s9, s5, s5
	s_branch .LBB3_43
.LBB3_40:                               ;   in Loop: Header=BB3_43 Depth=1
	s_or_b32 exec_lo, exec_lo, s30
	s_delay_alu instid0(SALU_CYCLE_1)
	s_or_not1_b32 s30, s31, exec_lo
.LBB3_41:                               ;   in Loop: Header=BB3_43 Depth=1
	s_or_b32 exec_lo, exec_lo, s29
	s_delay_alu instid0(SALU_CYCLE_1) | instskip(SKIP_1) | instid1(SALU_CYCLE_1)
	s_and_not1_b32 s16, s16, exec_lo
	s_and_b32 s29, s30, exec_lo
	s_or_b32 s16, s16, s29
.LBB3_42:                               ;   in Loop: Header=BB3_43 Depth=1
	s_or_b32 exec_lo, exec_lo, s17
	s_delay_alu instid0(SALU_CYCLE_1) | instskip(NEXT) | instid1(SALU_CYCLE_1)
	s_and_b32 s17, exec_lo, s16
	s_or_b32 s8, s17, s8
	s_delay_alu instid0(SALU_CYCLE_1)
	s_and_not1_b32 exec_lo, exec_lo, s8
	s_cbranch_execz .LBB3_47
.LBB3_43:                               ; =>This Inner Loop Header: Depth=1
	global_load_b128 v[4:7], v1, s[10:11] scale_offset
	s_or_b32 s16, s16, exec_lo
	s_mov_b32 s17, exec_lo
	v_add_nc_u32_e32 v3, s5, v1
	s_wait_loadcnt 0x0
	v_pk_mul_f32 v[4:5], v[4:5], v[4:5]
	v_pk_mul_f32 v[6:7], v[6:7], v[6:7]
	s_delay_alu instid0(VALU_DEP_2) | instskip(NEXT) | instid1(VALU_DEP_1)
	v_add_f32_e32 v2, v2, v4
	v_add_f32_e32 v2, v2, v5
	s_delay_alu instid0(VALU_DEP_1) | instskip(NEXT) | instid1(VALU_DEP_1)
	v_add_f32_e32 v2, v2, v6
	v_add_f32_e32 v2, v2, v7
	s_wait_xcnt 0x0
	v_cmpx_gt_u32_e64 s28, v3
	s_cbranch_execz .LBB3_42
; %bb.44:                               ;   in Loop: Header=BB3_43 Depth=1
	global_load_b128 v[4:7], v3, s[10:11] scale_offset
	s_mov_b32 s30, -1
	s_mov_b32 s29, exec_lo
	s_wait_loadcnt 0x0
	v_pk_mul_f32 v[4:5], v[4:5], v[4:5]
	v_pk_mul_f32 v[6:7], v[6:7], v[6:7]
	s_delay_alu instid0(VALU_DEP_2) | instskip(NEXT) | instid1(VALU_DEP_1)
	v_dual_add_f32 v2, v2, v4 :: v_dual_add_nc_u32 v4, s6, v1
	v_add_f32_e32 v2, v2, v5
	s_delay_alu instid0(VALU_DEP_1) | instskip(NEXT) | instid1(VALU_DEP_1)
	v_add_f32_e32 v2, v2, v6
	v_add_f32_e32 v2, v2, v7
	s_wait_xcnt 0x0
	v_cmpx_gt_u32_e64 s28, v4
	s_cbranch_execz .LBB3_41
; %bb.45:                               ;   in Loop: Header=BB3_43 Depth=1
	global_load_b128 v[4:7], v4, s[10:11] scale_offset
	s_mov_b32 s31, -1
	s_mov_b32 s30, exec_lo
	s_wait_loadcnt 0x0
	v_pk_mul_f32 v[4:5], v[4:5], v[4:5]
	v_pk_mul_f32 v[6:7], v[6:7], v[6:7]
	s_delay_alu instid0(VALU_DEP_2) | instskip(NEXT) | instid1(VALU_DEP_1)
	v_dual_add_f32 v2, v2, v4 :: v_dual_add_nc_u32 v4, s7, v1
                                        ; implicit-def: $vgpr1
	v_add_f32_e32 v2, v2, v5
	s_delay_alu instid0(VALU_DEP_1) | instskip(NEXT) | instid1(VALU_DEP_1)
	v_add_f32_e32 v2, v2, v6
	v_add_f32_e32 v2, v2, v7
	s_delay_alu instid0(VALU_DEP_4)
	v_cmpx_gt_u32_e64 s28, v4
	s_xor_b32 s30, exec_lo, s30
	s_cbranch_execz .LBB3_40
; %bb.46:                               ;   in Loop: Header=BB3_43 Depth=1
	global_load_b128 v[4:7], v4, s[10:11] scale_offset
	s_wait_loadcnt 0x0
	v_pk_mul_f32 v[4:5], v[4:5], v[4:5]
	s_delay_alu instid0(VALU_DEP_1) | instskip(NEXT) | instid1(VALU_DEP_1)
	v_add_f32_e32 v1, v2, v4
	v_add_f32_e32 v2, v1, v5
	v_pk_mul_f32 v[4:5], v[6:7], v[6:7]
	v_add3_u32 v1, s9, s5, v3
	s_delay_alu instid0(VALU_DEP_2) | instskip(NEXT) | instid1(VALU_DEP_2)
	v_add_f32_e32 v2, v2, v4
	v_cmp_le_u32_e32 vcc_lo, s28, v1
	s_delay_alu instid0(VALU_DEP_2)
	v_add_f32_e32 v2, v2, v5
	s_or_not1_b32 s31, vcc_lo, exec_lo
	s_branch .LBB3_40
.LBB3_47:
	s_or_b32 exec_lo, exec_lo, s8
.LBB3_48:
	s_delay_alu instid0(SALU_CYCLE_1)
	s_or_b32 exec_lo, exec_lo, s4
	v_mbcnt_lo_u32_b32 v1, -1, 0
	s_wait_kmcnt 0x0
	s_cmp_lt_u32 s26, s3
	s_mov_b32 s5, 0
	s_cselect_b32 s4, 12, 18
	v_and_b32_e32 v5, 0x3c0, v0
	v_cmp_ne_u32_e32 vcc_lo, 63, v1
	s_add_nc_u64 s[0:1], s[0:1], s[4:5]
	v_cmp_eq_u32_e64 s6, 0, v1
	s_load_u16 s16, s[0:1], 0x0
	v_add_nc_u32_e32 v6, 1, v1
	v_add_co_ci_u32_e64 v3, null, 0, v1, vcc_lo
	v_cmp_gt_u32_e32 vcc_lo, 62, v1
	s_delay_alu instid0(VALU_DEP_2)
	v_lshlrev_b32_e32 v3, 2, v3
	v_cndmask_b32_e64 v7, 0, 2, vcc_lo
	v_cmp_gt_u32_e32 vcc_lo, 60, v1
	ds_bpermute_b32 v4, v3, v2
	s_wait_kmcnt 0x0
	v_sub_nc_u32_e64 v8, s16, v5 clamp
	s_delay_alu instid0(VALU_DEP_1)
	v_cmp_lt_u32_e64 s0, v6, v8
	v_cndmask_b32_e64 v6, 0, 4, vcc_lo
	v_cmp_gt_u32_e32 vcc_lo, 56, v1
	s_wait_dscnt 0x0
	v_add_f32_e32 v5, v2, v4
	v_add_lshl_u32 v4, v7, v1, 2
	v_add_nc_u32_e32 v7, 2, v1
	s_delay_alu instid0(VALU_DEP_3) | instskip(NEXT) | instid1(VALU_DEP_2)
	v_cndmask_b32_e64 v2, v2, v5, s0
	v_cmp_lt_u32_e64 s1, v7, v8
	v_cndmask_b32_e64 v7, 0, 8, vcc_lo
	v_cmp_gt_u32_e32 vcc_lo, 48, v1
	ds_bpermute_b32 v5, v4, v2
	s_wait_dscnt 0x0
	v_add_f32_e32 v9, v2, v5
	v_add_lshl_u32 v5, v6, v1, 2
	s_delay_alu instid0(VALU_DEP_2) | instskip(SKIP_4) | instid1(VALU_DEP_2)
	v_cndmask_b32_e64 v2, v2, v9, s1
	ds_bpermute_b32 v6, v5, v2
	s_wait_dscnt 0x0
	v_dual_add_f32 v10, v2, v6 :: v_dual_add_nc_u32 v9, 4, v1
	v_add_lshl_u32 v6, v7, v1, 2
	v_cmp_lt_u32_e64 s3, v9, v8
	v_cndmask_b32_e64 v9, 0, 16, vcc_lo
	s_delay_alu instid0(VALU_DEP_2) | instskip(SKIP_3) | instid1(VALU_DEP_1)
	v_cndmask_b32_e64 v2, v2, v10, s3
	ds_bpermute_b32 v7, v6, v2
	s_wait_dscnt 0x0
	v_dual_add_f32 v11, v2, v7 :: v_dual_add_nc_u32 v10, 8, v1
	v_cmp_lt_u32_e64 s4, v10, v8
	v_add_lshl_u32 v7, v9, v1, 2
	s_delay_alu instid0(VALU_DEP_2) | instskip(NEXT) | instid1(VALU_DEP_1)
	v_dual_add_nc_u32 v10, 16, v1 :: v_dual_cndmask_b32 v9, v2, v11, s4
	v_cmp_lt_u32_e64 s5, v10, v8
	ds_bpermute_b32 v2, v7, v9
	s_wait_dscnt 0x0
	v_dual_add_f32 v11, v9, v2 :: v_dual_lshlrev_b32 v2, 2, v1
	s_delay_alu instid0(VALU_DEP_1) | instskip(SKIP_3) | instid1(VALU_DEP_1)
	v_cndmask_b32_e64 v9, v9, v11, s5
	ds_bpermute_b32 v10, v2, v9 offset:128
	s_wait_dscnt 0x0
	v_dual_add_f32 v10, v9, v10 :: v_dual_bitop2_b32 v11, 32, v1 bitop3:0x54
	v_cmp_lt_u32_e64 s8, v11, v8
	s_delay_alu instid0(VALU_DEP_1)
	v_cndmask_b32_e64 v8, v9, v10, s8
	s_and_saveexec_b32 s7, s6
; %bb.49:
	v_lshrrev_b32_e32 v9, 4, v0
	s_delay_alu instid0(VALU_DEP_1)
	v_and_b32_e32 v9, 60, v9
	ds_store_b32 v9, v8
; %bb.50:
	s_or_b32 exec_lo, exec_lo, s7
	v_cmp_gt_u32_e64 s7, 16, v0
	s_wait_storecnt_dscnt 0x0
	s_barrier_signal -1
	s_barrier_wait -1
	s_and_saveexec_b32 s17, s7
	s_cbranch_execz .LBB3_52
; %bb.51:
	ds_load_b32 v8, v2
	v_and_b32_e32 v9, 15, v1
	s_add_co_i32 s9, s16, 63
	s_delay_alu instid0(SALU_CYCLE_1) | instskip(NEXT) | instid1(VALU_DEP_1)
	s_lshr_b32 s29, s9, 6
	v_cmp_ne_u32_e32 vcc_lo, 15, v9
	v_add_co_ci_u32_e64 v10, null, 0, v1, vcc_lo
	s_delay_alu instid0(VALU_DEP_1)
	v_lshlrev_b32_e32 v10, 2, v10
	v_cmp_gt_u32_e32 vcc_lo, 14, v9
	v_cmp_gt_u32_e64 s9, 12, v9
	v_add_nc_u32_e32 v13, 2, v9
	s_wait_dscnt 0x0
	ds_bpermute_b32 v10, v10, v8
	v_add_nc_u32_e32 v12, 1, v9
	v_cndmask_b32_e64 v11, 0, 2, vcc_lo
	s_delay_alu instid0(VALU_DEP_1)
	v_add_lshl_u32 v11, v11, v1, 2
	s_wait_dscnt 0x0
	v_add_f32_e32 v10, v8, v10
	v_cmp_gt_u32_e32 vcc_lo, s29, v12
	v_cndmask_b32_e64 v12, 0, 4, s9
	v_cmp_gt_u32_e64 s9, s29, v13
	s_delay_alu instid0(VALU_DEP_4) | instskip(NEXT) | instid1(VALU_DEP_3)
	v_cndmask_b32_e32 v10, v8, v10, vcc_lo
	v_add_lshl_u32 v12, v12, v1, 2
	ds_bpermute_b32 v11, v11, v10
	s_wait_dscnt 0x0
	v_add_f32_e32 v11, v10, v11
	s_delay_alu instid0(VALU_DEP_1) | instskip(SKIP_2) | instid1(VALU_DEP_1)
	v_cndmask_b32_e64 v10, v10, v11, s9
	ds_bpermute_b32 v11, v12, v10
	v_dual_add_nc_u32 v12, 4, v9 :: v_dual_add_nc_u32 v9, 8, v9
	v_cmp_gt_u32_e64 s9, s29, v12
	s_wait_dscnt 0x0
	v_add_f32_e32 v11, v10, v11
	s_delay_alu instid0(VALU_DEP_1) | instskip(SKIP_4) | instid1(VALU_DEP_1)
	v_dual_cndmask_b32 v10, v10, v11, s9 :: v_dual_bitop2_b32 v11, 32, v2 bitop3:0x54
	v_cmp_gt_u32_e64 s9, s29, v9
	ds_bpermute_b32 v11, v11, v10
	s_wait_dscnt 0x0
	v_add_f32_e32 v11, v10, v11
	v_cndmask_b32_e64 v9, v10, v11, s9
	s_delay_alu instid0(VALU_DEP_1)
	v_cndmask_b32_e32 v8, v8, v9, vcc_lo
.LBB3_52:
	s_or_b32 exec_lo, exec_lo, s17
	v_cmp_eq_u32_e64 s9, 0, v0
	s_and_saveexec_b32 s17, s9
	s_cbranch_execz .LBB3_54
; %bb.53:
	s_cvt_f32_i32 s23, s23
	s_delay_alu instid0(SALU_CYCLE_3) | instskip(SKIP_1) | instid1(VALU_DEP_2)
	v_div_scale_f32 v9, null, s23, s23, v8
	v_div_scale_f32 v12, vcc_lo, v8, s23, v8
	v_rcp_f32_e32 v10, v9
	v_nop
	s_delay_alu instid0(TRANS32_DEP_1) | instskip(NEXT) | instid1(VALU_DEP_1)
	v_fma_f32 v11, -v9, v10, 1.0
	v_fmac_f32_e32 v10, v11, v10
	s_delay_alu instid0(VALU_DEP_1) | instskip(NEXT) | instid1(VALU_DEP_1)
	v_mul_f32_e32 v11, v12, v10
	v_fma_f32 v13, -v9, v11, v12
	s_delay_alu instid0(VALU_DEP_1) | instskip(NEXT) | instid1(VALU_DEP_1)
	v_fmac_f32_e32 v11, v13, v10
	v_fma_f32 v9, -v9, v11, v12
	s_delay_alu instid0(VALU_DEP_1) | instskip(NEXT) | instid1(VALU_DEP_1)
	v_div_fmas_f32 v9, v9, v10, v11
	v_div_fixup_f32 v8, v9, s23, v8
	s_delay_alu instid0(VALU_DEP_1) | instskip(NEXT) | instid1(VALU_DEP_1)
	v_add_f32_e32 v8, s22, v8
	v_mul_f32_e32 v9, 0x4b800000, v8
	v_cmp_gt_f32_e32 vcc_lo, 0x800000, v8
	s_delay_alu instid0(VALU_DEP_2) | instskip(NEXT) | instid1(VALU_DEP_1)
	v_cndmask_b32_e32 v8, v8, v9, vcc_lo
	v_rsq_f32_e32 v8, v8
	v_nop
	s_delay_alu instid0(TRANS32_DEP_1) | instskip(NEXT) | instid1(VALU_DEP_1)
	v_mul_f32_e32 v9, 0x45800000, v8
	v_dual_cndmask_b32 v8, v8, v9 :: v_dual_mov_b32 v9, 0
	ds_store_b32 v9, v8 offset:256
.LBB3_54:
	s_or_b32 exec_lo, exec_lo, s17
	v_mov_b32_e32 v8, 0
	s_wait_dscnt 0x0
	s_barrier_signal -1
	s_barrier_wait -1
	ds_load_b32 v14, v8 offset:256
	s_and_saveexec_b32 s17, s2
	s_cbranch_execz .LBB3_64
; %bb.55:
	v_dual_mov_b32 v8, 0 :: v_dual_mov_b32 v9, v0
	s_lshl_b32 s22, s16, 1
	s_mul_i32 s29, s16, 3
	s_mov_b32 s23, 0
	s_add_co_i32 s30, s16, s16
                                        ; implicit-def: $sgpr31
	s_branch .LBB3_59
.LBB3_56:                               ;   in Loop: Header=BB3_59 Depth=1
	s_or_b32 exec_lo, exec_lo, s35
	s_delay_alu instid0(SALU_CYCLE_1)
	s_or_not1_b32 s35, s36, exec_lo
.LBB3_57:                               ;   in Loop: Header=BB3_59 Depth=1
	s_or_b32 exec_lo, exec_lo, s34
	s_delay_alu instid0(SALU_CYCLE_1) | instskip(SKIP_1) | instid1(SALU_CYCLE_1)
	s_and_not1_b32 s31, s31, exec_lo
	s_and_b32 s34, s35, exec_lo
	s_or_b32 s31, s31, s34
.LBB3_58:                               ;   in Loop: Header=BB3_59 Depth=1
	s_or_b32 exec_lo, exec_lo, s33
	s_delay_alu instid0(SALU_CYCLE_1) | instskip(NEXT) | instid1(SALU_CYCLE_1)
	s_and_b32 s33, exec_lo, s31
	s_or_b32 s23, s33, s23
	s_delay_alu instid0(SALU_CYCLE_1)
	s_and_not1_b32 exec_lo, exec_lo, s23
	s_cbranch_execz .LBB3_63
.LBB3_59:                               ; =>This Inner Loop Header: Depth=1
	s_clause 0x1
	global_load_b128 v[10:13], v9, s[10:11] scale_offset
	global_load_b128 v[16:19], v9, s[18:19] scale_offset
	s_or_b32 s31, s31, exec_lo
	s_mov_b32 s33, exec_lo
	s_wait_loadcnt_dscnt 0x100
	v_dual_mul_f32 v10, v14, v10 :: v_dual_mul_f32 v11, v14, v11
	v_dual_mul_f32 v12, v14, v12 :: v_dual_mul_f32 v13, v14, v13
	s_wait_loadcnt 0x0
	s_delay_alu instid0(VALU_DEP_2) | instskip(NEXT) | instid1(VALU_DEP_2)
	v_dual_mul_f32 v10, v10, v16 :: v_dual_mul_f32 v11, v11, v17
	v_dual_mul_f32 v12, v12, v18 :: v_dual_mul_f32 v13, v13, v19
	s_delay_alu instid0(VALU_DEP_2) | instskip(SKIP_1) | instid1(VALU_DEP_2)
	v_max3_num_f32 v8, v8, |v10|, |v11|
	v_add_nc_u32_e32 v10, s16, v9
	v_max3_num_f32 v8, v8, |v12|, |v13|
	s_delay_alu instid0(VALU_DEP_2)
	v_cmpx_gt_u32_e64 s28, v10
	s_cbranch_execz .LBB3_58
; %bb.60:                               ;   in Loop: Header=BB3_59 Depth=1
	s_clause 0x1
	global_load_b128 v[16:19], v10, s[10:11] scale_offset
	global_load_b128 v[20:23], v10, s[18:19] scale_offset
	s_mov_b32 s35, -1
	s_mov_b32 s34, exec_lo
	s_wait_loadcnt 0x1
	v_dual_mul_f32 v11, v14, v16 :: v_dual_mul_f32 v12, v14, v17
	v_dual_mul_f32 v13, v14, v18 :: v_dual_mul_f32 v15, v14, v19
	s_wait_loadcnt 0x0
	s_delay_alu instid0(VALU_DEP_2) | instskip(NEXT) | instid1(VALU_DEP_2)
	v_dual_mul_f32 v11, v11, v20 :: v_dual_mul_f32 v12, v12, v21
	v_dual_mul_f32 v13, v13, v22 :: v_dual_mul_f32 v15, v15, v23
	s_delay_alu instid0(VALU_DEP_2) | instskip(SKIP_1) | instid1(VALU_DEP_2)
	v_max3_num_f32 v8, v8, |v11|, |v12|
	v_add_nc_u32_e32 v11, s22, v9
	v_max3_num_f32 v8, v8, |v13|, |v15|
	s_delay_alu instid0(VALU_DEP_2)
	v_cmpx_gt_u32_e64 s28, v11
	s_cbranch_execz .LBB3_57
; %bb.61:                               ;   in Loop: Header=BB3_59 Depth=1
	s_clause 0x1
	global_load_b128 v[16:19], v11, s[10:11] scale_offset
	global_load_b128 v[20:23], v11, s[18:19] scale_offset
	s_mov_b32 s36, -1
	s_mov_b32 s35, exec_lo
	s_wait_loadcnt 0x1
	s_wait_xcnt 0x0
	v_dual_mul_f32 v11, v14, v16 :: v_dual_mul_f32 v12, v14, v17
	v_dual_mul_f32 v13, v14, v18 :: v_dual_mul_f32 v15, v14, v19
	s_wait_loadcnt 0x0
	s_delay_alu instid0(VALU_DEP_2) | instskip(NEXT) | instid1(VALU_DEP_2)
	v_dual_mul_f32 v11, v11, v20 :: v_dual_mul_f32 v12, v12, v21
	v_dual_mul_f32 v13, v13, v22 :: v_dual_mul_f32 v15, v15, v23
	s_delay_alu instid0(VALU_DEP_2) | instskip(SKIP_1) | instid1(VALU_DEP_2)
	v_max3_num_f32 v8, v8, |v11|, |v12|
	v_add_nc_u32_e32 v11, s29, v9
                                        ; implicit-def: $vgpr9
	v_max3_num_f32 v8, v8, |v13|, |v15|
	s_delay_alu instid0(VALU_DEP_2)
	v_cmpx_gt_u32_e64 s28, v11
	s_xor_b32 s35, exec_lo, s35
	s_cbranch_execz .LBB3_56
; %bb.62:                               ;   in Loop: Header=BB3_59 Depth=1
	s_clause 0x1
	global_load_b128 v[16:19], v11, s[10:11] scale_offset
	global_load_b128 v[20:23], v11, s[18:19] scale_offset
	s_wait_loadcnt 0x1
	s_wait_xcnt 0x0
	v_dual_mul_f32 v9, v14, v16 :: v_dual_mul_f32 v11, v14, v17
	v_dual_mul_f32 v12, v14, v18 :: v_dual_mul_f32 v15, v14, v19
	s_wait_loadcnt 0x0
	s_delay_alu instid0(VALU_DEP_2) | instskip(SKIP_1) | instid1(VALU_DEP_3)
	v_dual_mul_f32 v13, v9, v20 :: v_dual_mul_f32 v11, v11, v21
	v_add3_u32 v9, s30, s16, v10
	v_mul_f32_e32 v10, v12, v22
	s_delay_alu instid0(VALU_DEP_3) | instskip(SKIP_1) | instid1(VALU_DEP_4)
	v_max3_num_f32 v8, v8, |v13|, |v11|
	v_mul_f32_e32 v11, v15, v23
	v_cmp_le_u32_e32 vcc_lo, s28, v9
	s_delay_alu instid0(VALU_DEP_2)
	v_max3_num_f32 v8, v8, |v10|, |v11|
	s_or_not1_b32 s36, vcc_lo, exec_lo
	s_branch .LBB3_56
.LBB3_63:
	s_or_b32 exec_lo, exec_lo, s23
.LBB3_64:
	s_delay_alu instid0(SALU_CYCLE_1)
	s_or_b32 exec_lo, exec_lo, s17
	ds_bpermute_b32 v3, v3, v8
	v_or_b32_e32 v9, 0x80, v2
	s_wait_dscnt 0x0
	v_cmp_lt_f32_e32 vcc_lo, v8, v3
	v_cndmask_b32_e32 v3, v8, v3, vcc_lo
	s_delay_alu instid0(VALU_DEP_1) | instskip(SKIP_1) | instid1(SALU_CYCLE_1)
	v_cndmask_b32_e64 v3, v8, v3, s0
	s_or_b32 s0, s0, s1
	s_or_b32 s0, s3, s0
	s_delay_alu instid0(SALU_CYCLE_1)
	s_or_b32 s0, s4, s0
	ds_bpermute_b32 v4, v4, v3
	s_or_b32 s0, s5, s0
	s_wait_dscnt 0x0
	v_cmp_lt_f32_e32 vcc_lo, v3, v4
	v_cndmask_b32_e32 v4, v3, v4, vcc_lo
	s_delay_alu instid0(VALU_DEP_1) | instskip(SKIP_4) | instid1(VALU_DEP_1)
	v_cndmask_b32_e64 v3, v3, v4, s1
	ds_bpermute_b32 v4, v5, v3
	s_wait_dscnt 0x0
	v_cmp_lt_f32_e32 vcc_lo, v3, v4
	v_cndmask_b32_e32 v4, v3, v4, vcc_lo
	v_cndmask_b32_e64 v3, v3, v4, s3
	ds_bpermute_b32 v4, v6, v3
	s_wait_dscnt 0x0
	v_cmp_lt_f32_e32 vcc_lo, v3, v4
	v_cndmask_b32_e32 v4, v3, v4, vcc_lo
	s_delay_alu instid0(VALU_DEP_1) | instskip(SKIP_4) | instid1(VALU_DEP_1)
	v_cndmask_b32_e64 v3, v3, v4, s4
	ds_bpermute_b32 v4, v7, v3
	s_wait_dscnt 0x0
	v_cmp_lt_f32_e32 vcc_lo, v3, v4
	v_cndmask_b32_e32 v4, v3, v4, vcc_lo
	v_cndmask_b32_e64 v3, v3, v4, s5
	ds_bpermute_b32 v4, v9, v3
	s_wait_dscnt 0x0
	v_cmp_lt_f32_e32 vcc_lo, v3, v4
	s_and_b32 vcc_lo, s8, vcc_lo
	v_cndmask_b32_e32 v3, v3, v4, vcc_lo
	s_or_b32 vcc_lo, s8, s0
	s_delay_alu instid0(VALU_DEP_1)
	v_cndmask_b32_e32 v3, v8, v3, vcc_lo
	s_and_saveexec_b32 s0, s6
; %bb.65:
	v_lshrrev_b32_e32 v4, 4, v0
	s_delay_alu instid0(VALU_DEP_1)
	v_and_b32_e32 v4, 60, v4
	ds_store_b32 v4, v3 offset:64
; %bb.66:
	s_or_b32 exec_lo, exec_lo, s0
	s_wait_dscnt 0x0
	s_barrier_signal -1
	s_barrier_wait -1
	s_and_saveexec_b32 s3, s7
	s_cbranch_execz .LBB3_68
; %bb.67:
	ds_load_b32 v3, v2 offset:64
	v_and_b32_e32 v4, 15, v1
	s_add_co_i32 s0, s16, 63
	v_or_b32_e32 v2, 32, v2
	s_lshr_b32 s1, s0, 6
	s_delay_alu instid0(VALU_DEP_2) | instskip(SKIP_4) | instid1(VALU_DEP_3)
	v_cmp_ne_u32_e32 vcc_lo, 15, v4
	v_add_nc_u32_e32 v6, 1, v4
	v_cmp_gt_u32_e64 s0, 12, v4
	v_add_co_ci_u32_e64 v5, null, 0, v1, vcc_lo
	v_cmp_gt_u32_e32 vcc_lo, 14, v4
	v_cndmask_b32_e64 v8, 0, 4, s0
	s_delay_alu instid0(VALU_DEP_3)
	v_lshlrev_b32_e32 v5, 2, v5
	v_cndmask_b32_e64 v7, 0, 2, vcc_lo
	s_wait_dscnt 0x0
	ds_bpermute_b32 v5, v5, v3
	v_add_lshl_u32 v7, v7, v1, 2
	v_add_lshl_u32 v1, v8, v1, 2
	s_wait_dscnt 0x0
	v_cmp_lt_f32_e32 vcc_lo, v3, v5
	v_cndmask_b32_e32 v5, v3, v5, vcc_lo
	v_cmp_gt_u32_e32 vcc_lo, s1, v6
	s_delay_alu instid0(VALU_DEP_2) | instskip(SKIP_3) | instid1(VALU_DEP_1)
	v_cndmask_b32_e32 v5, v3, v5, vcc_lo
	ds_bpermute_b32 v6, v7, v5
	s_wait_dscnt 0x0
	v_cmp_lt_f32_e64 s0, v5, v6
	v_dual_cndmask_b32 v6, v5, v6, s0 :: v_dual_add_nc_u32 v7, 2, v4
	s_delay_alu instid0(VALU_DEP_1) | instskip(NEXT) | instid1(VALU_DEP_1)
	v_cmp_gt_u32_e64 s0, s1, v7
	v_dual_cndmask_b32 v5, v5, v6, s0 :: v_dual_add_nc_u32 v6, 4, v4
	v_add_nc_u32_e32 v4, 8, v4
	ds_bpermute_b32 v1, v1, v5
	s_wait_dscnt 0x0
	v_cmp_lt_f32_e64 s0, v5, v1
	s_delay_alu instid0(VALU_DEP_1) | instskip(SKIP_1) | instid1(VALU_DEP_1)
	v_cndmask_b32_e64 v1, v5, v1, s0
	v_cmp_gt_u32_e64 s0, s1, v6
	v_cndmask_b32_e64 v1, v5, v1, s0
	v_cmp_gt_u32_e64 s0, s1, v4
	ds_bpermute_b32 v2, v2, v1
	s_wait_dscnt 0x0
	v_cmp_lt_f32_e64 s1, v1, v2
	s_and_b32 s0, s0, s1
	s_delay_alu instid0(SALU_CYCLE_1) | instskip(NEXT) | instid1(VALU_DEP_1)
	v_cndmask_b32_e64 v1, v1, v2, s0
	v_cndmask_b32_e32 v3, v3, v1, vcc_lo
.LBB3_68:
	s_or_b32 exec_lo, exec_lo, s3
	s_and_saveexec_b32 s0, s9
	s_cbranch_execz .LBB3_72
; %bb.69:
	s_cmp_eq_u64 s[20:21], 0
	s_cbranch_scc1 .LBB3_71
; %bb.70:
	v_dual_mov_b32 v1, 0 :: v_dual_max_num_f32 v2, v3, v3
	global_load_b32 v1, v1, s[20:21]
	s_wait_loadcnt 0x0
	v_max_num_f32_e32 v1, v1, v1
	s_delay_alu instid0(VALU_DEP_1)
	v_min_num_f32_e32 v3, v2, v1
.LBB3_71:
	s_delay_alu instid0(VALU_DEP_1)
	v_div_scale_f32 v1, null, 0x43e00000, 0x43e00000, v3
	v_div_scale_f32 v5, vcc_lo, v3, 0x43e00000, v3
	s_lshl_b64 s[4:5], s[26:27], 2
	v_rcp_f32_e32 v2, v1
	s_add_nc_u64 s[4:5], s[14:15], s[4:5]
	v_nop
	s_delay_alu instid0(TRANS32_DEP_1) | instskip(NEXT) | instid1(VALU_DEP_1)
	v_fma_f32 v4, -v1, v2, 1.0
	v_fmac_f32_e32 v2, v4, v2
	s_delay_alu instid0(VALU_DEP_1) | instskip(NEXT) | instid1(VALU_DEP_1)
	v_mul_f32_e32 v4, v5, v2
	v_fma_f32 v6, -v1, v4, v5
	s_delay_alu instid0(VALU_DEP_1) | instskip(NEXT) | instid1(VALU_DEP_1)
	v_fmac_f32_e32 v4, v6, v2
	v_fma_f32 v1, -v1, v4, v5
	s_delay_alu instid0(VALU_DEP_1) | instskip(SKIP_1) | instid1(VALU_DEP_2)
	v_div_fmas_f32 v1, v1, v2, v4
	v_mov_b32_e32 v2, 0
	v_div_fixup_f32 v1, v1, 0x43e00000, v3
	s_delay_alu instid0(VALU_DEP_1)
	v_max_num_f32_e32 v1, 0x36924925, v1
	ds_store_b32 v2, v1 offset:260
	global_store_b32 v2, v1, s[4:5]
.LBB3_72:
	s_wait_xcnt 0x0
	s_or_b32 exec_lo, exec_lo, s0
	s_wait_storecnt_dscnt 0x0
	s_barrier_signal -1
	s_barrier_wait -1
	s_and_saveexec_b32 s0, s2
	s_cbranch_execz .LBB3_177
; %bb.73:
	v_mov_b32_e32 v1, 0
	s_add_nc_u64 s[0:1], s[12:13], s[24:25]
	s_lshl_b32 s2, s16, 1
	s_mul_i32 s3, s16, 3
	s_mov_b32 s4, 0
	ds_load_b32 v15, v1 offset:260
	s_mov_b32 s5, 0x43e00000
	s_add_co_i32 s6, s16, s16
	s_branch .LBB3_79
.LBB3_74:                               ;   in Loop: Header=BB3_79 Depth=1
	s_or_b32 exec_lo, exec_lo, s13
.LBB3_75:                               ;   in Loop: Header=BB3_79 Depth=1
	s_delay_alu instid0(SALU_CYCLE_1) | instskip(SKIP_4) | instid1(VALU_DEP_4)
	s_or_b32 exec_lo, exec_lo, s12
	v_lshrrev_b32_e32 v7, 24, v7
	v_dual_lshrrev_b32 v3, 24, v3 :: v_dual_lshlrev_b32 v4, 24, v4
	v_and_b32_e32 v5, 0x80000000, v5
	v_and_b32_e32 v6, 0xff, v6
	;; [unrolled: 1-line block ×3, first 2 shown]
	s_delay_alu instid0(VALU_DEP_4) | instskip(NEXT) | instid1(VALU_DEP_2)
	v_and_b32_e32 v3, 0x80, v3
	v_and_or_b32 v7, 0xff, v8, v7
	v_lshrrev_b32_e32 v8, 24, v2
	s_delay_alu instid0(VALU_DEP_3) | instskip(SKIP_2) | instid1(VALU_DEP_3)
	v_and_or_b32 v9, 0xff, v11, v3
	v_lshl_add_u64 v[2:3], v[0:1], 2, s[0:1]
	v_add3_u32 v0, s6, s16, v10
	v_dual_lshlrev_b32 v7, 16, v7 :: v_dual_lshlrev_b32 v9, 8, v9
	s_delay_alu instid0(VALU_DEP_2) | instskip(NEXT) | instid1(VALU_DEP_2)
	v_cmp_le_u32_e32 vcc_lo, s28, v0
	v_or3_b32 v4, v5, v4, v7
	v_and_or_b32 v5, 0x80, v8, v6
	s_or_not1_b32 s12, vcc_lo, exec_lo
	s_delay_alu instid0(VALU_DEP_1)
	v_or3_b32 v4, v4, v9, v5
	global_store_b32 v[2:3], v4, off
.LBB3_76:                               ;   in Loop: Header=BB3_79 Depth=1
	s_wait_xcnt 0x0
	s_or_b32 exec_lo, exec_lo, s9
	s_delay_alu instid0(SALU_CYCLE_1)
	s_or_not1_b32 s9, s12, exec_lo
.LBB3_77:                               ;   in Loop: Header=BB3_79 Depth=1
	s_or_b32 exec_lo, exec_lo, s8
	s_delay_alu instid0(SALU_CYCLE_1)
	s_or_not1_b32 s8, s9, exec_lo
.LBB3_78:                               ;   in Loop: Header=BB3_79 Depth=1
	s_or_b32 exec_lo, exec_lo, s7
	s_delay_alu instid0(SALU_CYCLE_1) | instskip(NEXT) | instid1(SALU_CYCLE_1)
	s_and_b32 s7, exec_lo, s8
	s_or_b32 s4, s7, s4
	s_delay_alu instid0(SALU_CYCLE_1)
	s_and_not1_b32 exec_lo, exec_lo, s4
	s_cbranch_execz .LBB3_177
.LBB3_79:                               ; =>This Inner Loop Header: Depth=1
	s_clause 0x1
	global_load_b128 v[2:5], v0, s[10:11] scale_offset
	global_load_b128 v[6:9], v0, s[18:19] scale_offset
	s_mov_b32 s7, exec_lo
	s_wait_loadcnt 0x1
	v_mul_f32_e32 v2, v14, v2
	s_wait_loadcnt 0x0
	s_delay_alu instid0(VALU_DEP_1) | instskip(SKIP_1) | instid1(VALU_DEP_1)
	v_mul_f32_e32 v2, v2, v6
	s_wait_dscnt 0x0
	v_div_scale_f32 v6, null, v15, v15, v2
	v_div_scale_f32 v12, vcc_lo, v2, v15, v2
	s_delay_alu instid0(VALU_DEP_2) | instskip(SKIP_1) | instid1(TRANS32_DEP_1)
	v_rcp_f32_e32 v10, v6
	v_nop
	v_fma_f32 v11, -v6, v10, 1.0
	s_delay_alu instid0(VALU_DEP_1) | instskip(NEXT) | instid1(VALU_DEP_1)
	v_fmac_f32_e32 v10, v11, v10
	v_mul_f32_e32 v11, v12, v10
	s_delay_alu instid0(VALU_DEP_1) | instskip(NEXT) | instid1(VALU_DEP_1)
	v_fma_f32 v13, -v6, v11, v12
	v_fmac_f32_e32 v11, v13, v10
	s_delay_alu instid0(VALU_DEP_1) | instskip(NEXT) | instid1(VALU_DEP_1)
	v_fma_f32 v6, -v6, v11, v12
	v_div_fmas_f32 v6, v6, v10, v11
	v_mov_b32_e32 v10, 0x7f
	s_delay_alu instid0(VALU_DEP_2) | instskip(SKIP_1) | instid1(VALU_DEP_2)
	v_div_fixup_f32 v2, v6, v15, v2
	v_mov_b32_e32 v6, 0x7f
	v_minmax_num_f32 v2, v2, s5, 0xc3e00000
	s_delay_alu instid0(VALU_DEP_1) | instskip(SKIP_1) | instid1(VALU_DEP_1)
	v_and_b32_e32 v11, 0x7fffffff, v2
	s_wait_xcnt 0x0
	v_cmpx_gt_u32_e32 0x43f00000, v11
	s_cbranch_execz .LBB3_85
; %bb.80:                               ;   in Loop: Header=BB3_79 Depth=1
	s_mov_b32 s8, exec_lo
                                        ; implicit-def: $vgpr6
	v_cmpx_lt_u32_e32 0x3c7fffff, v11
	s_xor_b32 s8, exec_lo, s8
; %bb.81:                               ;   in Loop: Header=BB3_79 Depth=1
	v_bfe_u32 v6, v2, 20, 1
	s_delay_alu instid0(VALU_DEP_1) | instskip(NEXT) | instid1(VALU_DEP_1)
	v_add3_u32 v6, v2, v6, 0x407ffff
	v_lshrrev_b32_e32 v6, 20, v6
; %bb.82:                               ;   in Loop: Header=BB3_79 Depth=1
	s_and_not1_saveexec_b32 s8, s8
; %bb.83:                               ;   in Loop: Header=BB3_79 Depth=1
	v_add_f32_e64 v6, 0x46800000, |v2|
; %bb.84:                               ;   in Loop: Header=BB3_79 Depth=1
	s_or_b32 exec_lo, exec_lo, s8
.LBB3_85:                               ;   in Loop: Header=BB3_79 Depth=1
	s_delay_alu instid0(SALU_CYCLE_1) | instskip(SKIP_2) | instid1(VALU_DEP_1)
	s_or_b32 exec_lo, exec_lo, s7
	v_mul_f32_e32 v3, v14, v3
	s_mov_b32 s7, exec_lo
	v_mul_f32_e32 v3, v3, v7
	s_delay_alu instid0(VALU_DEP_1) | instskip(NEXT) | instid1(VALU_DEP_1)
	v_div_scale_f32 v7, null, v15, v15, v3
	v_rcp_f32_e32 v11, v7
	v_nop
	s_delay_alu instid0(TRANS32_DEP_1) | instskip(NEXT) | instid1(VALU_DEP_1)
	v_fma_f32 v12, -v7, v11, 1.0
	v_fmac_f32_e32 v11, v12, v11
	v_div_scale_f32 v12, vcc_lo, v3, v15, v3
	s_delay_alu instid0(VALU_DEP_1) | instskip(NEXT) | instid1(VALU_DEP_1)
	v_mul_f32_e32 v13, v12, v11
	v_fma_f32 v16, -v7, v13, v12
	s_delay_alu instid0(VALU_DEP_1) | instskip(NEXT) | instid1(VALU_DEP_1)
	v_fmac_f32_e32 v13, v16, v11
	v_fma_f32 v7, -v7, v13, v12
	s_delay_alu instid0(VALU_DEP_1) | instskip(NEXT) | instid1(VALU_DEP_1)
	v_div_fmas_f32 v7, v7, v11, v13
	v_div_fixup_f32 v3, v7, v15, v3
	s_delay_alu instid0(VALU_DEP_1) | instskip(NEXT) | instid1(VALU_DEP_1)
	v_minmax_num_f32 v3, v3, s5, 0xc3e00000
	v_and_b32_e32 v7, 0x7fffffff, v3
	s_delay_alu instid0(VALU_DEP_1)
	v_cmpx_gt_u32_e32 0x43f00000, v7
	s_cbranch_execz .LBB3_91
; %bb.86:                               ;   in Loop: Header=BB3_79 Depth=1
	s_mov_b32 s8, exec_lo
                                        ; implicit-def: $vgpr10
	v_cmpx_lt_u32_e32 0x3c7fffff, v7
	s_xor_b32 s8, exec_lo, s8
; %bb.87:                               ;   in Loop: Header=BB3_79 Depth=1
	v_bfe_u32 v7, v3, 20, 1
	s_delay_alu instid0(VALU_DEP_1) | instskip(NEXT) | instid1(VALU_DEP_1)
	v_add3_u32 v7, v3, v7, 0x407ffff
	v_lshrrev_b32_e32 v10, 20, v7
; %bb.88:                               ;   in Loop: Header=BB3_79 Depth=1
	s_and_not1_saveexec_b32 s8, s8
; %bb.89:                               ;   in Loop: Header=BB3_79 Depth=1
	v_add_f32_e64 v10, 0x46800000, |v3|
; %bb.90:                               ;   in Loop: Header=BB3_79 Depth=1
	s_or_b32 exec_lo, exec_lo, s8
.LBB3_91:                               ;   in Loop: Header=BB3_79 Depth=1
	s_delay_alu instid0(SALU_CYCLE_1) | instskip(SKIP_2) | instid1(VALU_DEP_1)
	s_or_b32 exec_lo, exec_lo, s7
	v_mul_f32_e32 v4, v14, v4
	s_mov_b32 s7, exec_lo
	v_mul_f32_e32 v4, v4, v8
	s_delay_alu instid0(VALU_DEP_1) | instskip(NEXT) | instid1(VALU_DEP_1)
	v_div_scale_f32 v7, null, v15, v15, v4
	v_rcp_f32_e32 v8, v7
	v_nop
	s_delay_alu instid0(TRANS32_DEP_1) | instskip(NEXT) | instid1(VALU_DEP_1)
	v_fma_f32 v11, -v7, v8, 1.0
	v_fmac_f32_e32 v8, v11, v8
	v_div_scale_f32 v12, vcc_lo, v4, v15, v4
	s_delay_alu instid0(VALU_DEP_1) | instskip(NEXT) | instid1(VALU_DEP_1)
	v_mul_f32_e32 v11, v12, v8
	v_fma_f32 v13, -v7, v11, v12
	s_delay_alu instid0(VALU_DEP_1) | instskip(NEXT) | instid1(VALU_DEP_1)
	v_fmac_f32_e32 v11, v13, v8
	v_fma_f32 v7, -v7, v11, v12
	s_delay_alu instid0(VALU_DEP_1) | instskip(SKIP_1) | instid1(VALU_DEP_2)
	v_div_fmas_f32 v7, v7, v8, v11
	v_mov_b32_e32 v8, 0x7f
	v_div_fixup_f32 v4, v7, v15, v4
	s_delay_alu instid0(VALU_DEP_1) | instskip(SKIP_1) | instid1(VALU_DEP_2)
	v_minmax_num_f32 v7, v4, s5, 0xc3e00000
	v_mov_b32_e32 v4, 0x7f
	v_and_b32_e32 v11, 0x7fffffff, v7
	s_delay_alu instid0(VALU_DEP_1)
	v_cmpx_gt_u32_e32 0x43f00000, v11
	s_cbranch_execz .LBB3_97
; %bb.92:                               ;   in Loop: Header=BB3_79 Depth=1
	s_mov_b32 s8, exec_lo
                                        ; implicit-def: $vgpr8
	v_cmpx_lt_u32_e32 0x3c7fffff, v11
	s_xor_b32 s8, exec_lo, s8
; %bb.93:                               ;   in Loop: Header=BB3_79 Depth=1
	v_bfe_u32 v8, v7, 20, 1
	s_delay_alu instid0(VALU_DEP_1) | instskip(NEXT) | instid1(VALU_DEP_1)
	v_add3_u32 v8, v7, v8, 0x407ffff
	v_lshrrev_b32_e32 v8, 20, v8
; %bb.94:                               ;   in Loop: Header=BB3_79 Depth=1
	s_and_not1_saveexec_b32 s8, s8
; %bb.95:                               ;   in Loop: Header=BB3_79 Depth=1
	v_add_f32_e64 v8, 0x46800000, |v7|
; %bb.96:                               ;   in Loop: Header=BB3_79 Depth=1
	s_or_b32 exec_lo, exec_lo, s8
.LBB3_97:                               ;   in Loop: Header=BB3_79 Depth=1
	s_delay_alu instid0(SALU_CYCLE_1) | instskip(SKIP_2) | instid1(VALU_DEP_1)
	s_or_b32 exec_lo, exec_lo, s7
	v_mul_f32_e32 v5, v14, v5
	s_mov_b32 s7, exec_lo
	v_mul_f32_e32 v5, v5, v9
	s_delay_alu instid0(VALU_DEP_1) | instskip(NEXT) | instid1(VALU_DEP_1)
	v_div_scale_f32 v9, null, v15, v15, v5
	v_rcp_f32_e32 v11, v9
	v_nop
	s_delay_alu instid0(TRANS32_DEP_1) | instskip(NEXT) | instid1(VALU_DEP_1)
	v_fma_f32 v12, -v9, v11, 1.0
	v_fmac_f32_e32 v11, v12, v11
	v_div_scale_f32 v12, vcc_lo, v5, v15, v5
	s_delay_alu instid0(VALU_DEP_1) | instskip(NEXT) | instid1(VALU_DEP_1)
	v_mul_f32_e32 v13, v12, v11
	v_fma_f32 v16, -v9, v13, v12
	s_delay_alu instid0(VALU_DEP_1) | instskip(NEXT) | instid1(VALU_DEP_1)
	v_fmac_f32_e32 v13, v16, v11
	v_fma_f32 v9, -v9, v13, v12
	s_delay_alu instid0(VALU_DEP_1) | instskip(NEXT) | instid1(VALU_DEP_1)
	v_div_fmas_f32 v9, v9, v11, v13
	v_div_fixup_f32 v5, v9, v15, v5
	s_delay_alu instid0(VALU_DEP_1) | instskip(NEXT) | instid1(VALU_DEP_1)
	v_minmax_num_f32 v5, v5, s5, 0xc3e00000
	v_and_b32_e32 v9, 0x7fffffff, v5
	s_delay_alu instid0(VALU_DEP_1)
	v_cmpx_gt_u32_e32 0x43f00000, v9
	s_cbranch_execz .LBB3_103
; %bb.98:                               ;   in Loop: Header=BB3_79 Depth=1
	s_mov_b32 s8, exec_lo
                                        ; implicit-def: $vgpr4
	v_cmpx_lt_u32_e32 0x3c7fffff, v9
	s_xor_b32 s8, exec_lo, s8
; %bb.99:                               ;   in Loop: Header=BB3_79 Depth=1
	v_bfe_u32 v4, v5, 20, 1
	s_delay_alu instid0(VALU_DEP_1) | instskip(NEXT) | instid1(VALU_DEP_1)
	v_add3_u32 v4, v5, v4, 0x407ffff
	v_lshrrev_b32_e32 v4, 20, v4
; %bb.100:                              ;   in Loop: Header=BB3_79 Depth=1
	s_and_not1_saveexec_b32 s8, s8
; %bb.101:                              ;   in Loop: Header=BB3_79 Depth=1
	v_add_f32_e64 v4, 0x46800000, |v5|
; %bb.102:                              ;   in Loop: Header=BB3_79 Depth=1
	s_or_b32 exec_lo, exec_lo, s8
.LBB3_103:                              ;   in Loop: Header=BB3_79 Depth=1
	s_delay_alu instid0(SALU_CYCLE_1) | instskip(SKIP_1) | instid1(VALU_DEP_2)
	s_or_b32 exec_lo, exec_lo, s7
	v_dual_lshrrev_b32 v7, 24, v7 :: v_dual_lshrrev_b32 v2, 24, v2
	v_dual_lshrrev_b32 v3, 24, v3 :: v_dual_lshlrev_b32 v4, 24, v4
	v_and_b32_e32 v5, 0x80000000, v5
	s_delay_alu instid0(VALU_DEP_3) | instskip(SKIP_1) | instid1(VALU_DEP_4)
	v_and_b32_e32 v7, 0x80, v7
	v_and_b32_e32 v6, 0xff, v6
	;; [unrolled: 1-line block ×3, first 2 shown]
	s_mov_b32 s8, -1
	s_mov_b32 s7, exec_lo
	v_and_or_b32 v7, 0xff, v8, v7
	s_delay_alu instid0(VALU_DEP_2) | instskip(NEXT) | instid1(VALU_DEP_2)
	v_and_or_b32 v3, 0xff, v10, v3
	v_dual_add_nc_u32 v10, s16, v0 :: v_dual_lshlrev_b32 v7, 16, v7
	s_delay_alu instid0(VALU_DEP_2) | instskip(NEXT) | instid1(VALU_DEP_2)
	v_lshlrev_b32_e32 v8, 8, v3
	v_or3_b32 v4, v5, v4, v7
	v_and_or_b32 v5, 0x80, v2, v6
	v_lshl_add_u64 v[2:3], v[0:1], 2, s[0:1]
	s_delay_alu instid0(VALU_DEP_2)
	v_or3_b32 v4, v4, v8, v5
	global_store_b32 v[2:3], v4, off
	s_wait_xcnt 0x0
	v_cmpx_gt_u32_e64 s28, v10
	s_cbranch_execz .LBB3_78
; %bb.104:                              ;   in Loop: Header=BB3_79 Depth=1
	s_clause 0x1
	global_load_b128 v[2:5], v10, s[10:11] scale_offset
	global_load_b128 v[6:9], v10, s[18:19] scale_offset
	s_mov_b32 s8, exec_lo
	s_wait_loadcnt 0x1
	v_mul_f32_e32 v2, v14, v2
	s_wait_loadcnt 0x0
	s_delay_alu instid0(VALU_DEP_1) | instskip(NEXT) | instid1(VALU_DEP_1)
	v_mul_f32_e32 v2, v2, v6
	v_div_scale_f32 v6, null, v15, v15, v2
	v_div_scale_f32 v13, vcc_lo, v2, v15, v2
	s_delay_alu instid0(VALU_DEP_2) | instskip(SKIP_1) | instid1(TRANS32_DEP_1)
	v_rcp_f32_e32 v11, v6
	v_nop
	v_fma_f32 v12, -v6, v11, 1.0
	s_delay_alu instid0(VALU_DEP_1) | instskip(NEXT) | instid1(VALU_DEP_1)
	v_fmac_f32_e32 v11, v12, v11
	v_mul_f32_e32 v12, v13, v11
	s_delay_alu instid0(VALU_DEP_1) | instskip(NEXT) | instid1(VALU_DEP_1)
	v_fma_f32 v16, -v6, v12, v13
	v_fmac_f32_e32 v12, v16, v11
	s_delay_alu instid0(VALU_DEP_1) | instskip(NEXT) | instid1(VALU_DEP_1)
	v_fma_f32 v6, -v6, v12, v13
	v_div_fmas_f32 v6, v6, v11, v12
	v_mov_b32_e32 v11, 0x7f
	s_delay_alu instid0(VALU_DEP_2) | instskip(SKIP_1) | instid1(VALU_DEP_2)
	v_div_fixup_f32 v2, v6, v15, v2
	v_mov_b32_e32 v6, 0x7f
	v_minmax_num_f32 v2, v2, s5, 0xc3e00000
	s_delay_alu instid0(VALU_DEP_1) | instskip(SKIP_1) | instid1(VALU_DEP_1)
	v_and_b32_e32 v12, 0x7fffffff, v2
	s_wait_xcnt 0x0
	v_cmpx_gt_u32_e32 0x43f00000, v12
	s_cbranch_execz .LBB3_110
; %bb.105:                              ;   in Loop: Header=BB3_79 Depth=1
	s_mov_b32 s9, exec_lo
                                        ; implicit-def: $vgpr6
	v_cmpx_lt_u32_e32 0x3c7fffff, v12
	s_xor_b32 s9, exec_lo, s9
; %bb.106:                              ;   in Loop: Header=BB3_79 Depth=1
	v_bfe_u32 v6, v2, 20, 1
	s_delay_alu instid0(VALU_DEP_1) | instskip(NEXT) | instid1(VALU_DEP_1)
	v_add3_u32 v6, v2, v6, 0x407ffff
	v_lshrrev_b32_e32 v6, 20, v6
; %bb.107:                              ;   in Loop: Header=BB3_79 Depth=1
	s_and_not1_saveexec_b32 s9, s9
; %bb.108:                              ;   in Loop: Header=BB3_79 Depth=1
	v_add_f32_e64 v6, 0x46800000, |v2|
; %bb.109:                              ;   in Loop: Header=BB3_79 Depth=1
	s_or_b32 exec_lo, exec_lo, s9
.LBB3_110:                              ;   in Loop: Header=BB3_79 Depth=1
	s_delay_alu instid0(SALU_CYCLE_1) | instskip(SKIP_2) | instid1(VALU_DEP_1)
	s_or_b32 exec_lo, exec_lo, s8
	v_mul_f32_e32 v3, v14, v3
	s_mov_b32 s8, exec_lo
	v_mul_f32_e32 v3, v3, v7
	s_delay_alu instid0(VALU_DEP_1) | instskip(NEXT) | instid1(VALU_DEP_1)
	v_div_scale_f32 v7, null, v15, v15, v3
	v_rcp_f32_e32 v12, v7
	v_nop
	s_delay_alu instid0(TRANS32_DEP_1) | instskip(NEXT) | instid1(VALU_DEP_1)
	v_fma_f32 v13, -v7, v12, 1.0
	v_fmac_f32_e32 v12, v13, v12
	v_div_scale_f32 v13, vcc_lo, v3, v15, v3
	s_delay_alu instid0(VALU_DEP_1) | instskip(NEXT) | instid1(VALU_DEP_1)
	v_mul_f32_e32 v16, v13, v12
	v_fma_f32 v17, -v7, v16, v13
	s_delay_alu instid0(VALU_DEP_1) | instskip(NEXT) | instid1(VALU_DEP_1)
	v_fmac_f32_e32 v16, v17, v12
	v_fma_f32 v7, -v7, v16, v13
	s_delay_alu instid0(VALU_DEP_1) | instskip(NEXT) | instid1(VALU_DEP_1)
	v_div_fmas_f32 v7, v7, v12, v16
	v_div_fixup_f32 v3, v7, v15, v3
	s_delay_alu instid0(VALU_DEP_1) | instskip(NEXT) | instid1(VALU_DEP_1)
	v_minmax_num_f32 v3, v3, s5, 0xc3e00000
	v_and_b32_e32 v7, 0x7fffffff, v3
	s_delay_alu instid0(VALU_DEP_1)
	v_cmpx_gt_u32_e32 0x43f00000, v7
	s_cbranch_execz .LBB3_116
; %bb.111:                              ;   in Loop: Header=BB3_79 Depth=1
	s_mov_b32 s9, exec_lo
                                        ; implicit-def: $vgpr11
	v_cmpx_lt_u32_e32 0x3c7fffff, v7
	s_xor_b32 s9, exec_lo, s9
; %bb.112:                              ;   in Loop: Header=BB3_79 Depth=1
	v_bfe_u32 v7, v3, 20, 1
	s_delay_alu instid0(VALU_DEP_1) | instskip(NEXT) | instid1(VALU_DEP_1)
	v_add3_u32 v7, v3, v7, 0x407ffff
	v_lshrrev_b32_e32 v11, 20, v7
; %bb.113:                              ;   in Loop: Header=BB3_79 Depth=1
	s_and_not1_saveexec_b32 s9, s9
; %bb.114:                              ;   in Loop: Header=BB3_79 Depth=1
	v_add_f32_e64 v11, 0x46800000, |v3|
; %bb.115:                              ;   in Loop: Header=BB3_79 Depth=1
	s_or_b32 exec_lo, exec_lo, s9
.LBB3_116:                              ;   in Loop: Header=BB3_79 Depth=1
	s_delay_alu instid0(SALU_CYCLE_1) | instskip(SKIP_2) | instid1(VALU_DEP_1)
	s_or_b32 exec_lo, exec_lo, s8
	v_mul_f32_e32 v4, v14, v4
	s_mov_b32 s8, exec_lo
	v_mul_f32_e32 v4, v4, v8
	s_delay_alu instid0(VALU_DEP_1) | instskip(SKIP_1) | instid1(VALU_DEP_2)
	v_div_scale_f32 v7, null, v15, v15, v4
	v_div_scale_f32 v13, vcc_lo, v4, v15, v4
	v_rcp_f32_e32 v8, v7
	v_nop
	s_delay_alu instid0(TRANS32_DEP_1) | instskip(NEXT) | instid1(VALU_DEP_1)
	v_fma_f32 v12, -v7, v8, 1.0
	v_fmac_f32_e32 v8, v12, v8
	s_delay_alu instid0(VALU_DEP_1) | instskip(NEXT) | instid1(VALU_DEP_1)
	v_mul_f32_e32 v12, v13, v8
	v_fma_f32 v16, -v7, v12, v13
	s_delay_alu instid0(VALU_DEP_1) | instskip(NEXT) | instid1(VALU_DEP_1)
	v_fmac_f32_e32 v12, v16, v8
	v_fma_f32 v7, -v7, v12, v13
	s_delay_alu instid0(VALU_DEP_1) | instskip(SKIP_1) | instid1(VALU_DEP_2)
	v_div_fmas_f32 v7, v7, v8, v12
	v_mov_b32_e32 v8, 0x7f
	v_div_fixup_f32 v4, v7, v15, v4
	s_delay_alu instid0(VALU_DEP_1) | instskip(SKIP_1) | instid1(VALU_DEP_2)
	v_minmax_num_f32 v7, v4, s5, 0xc3e00000
	v_mov_b32_e32 v4, 0x7f
	v_and_b32_e32 v12, 0x7fffffff, v7
	s_delay_alu instid0(VALU_DEP_1)
	v_cmpx_gt_u32_e32 0x43f00000, v12
	s_cbranch_execz .LBB3_122
; %bb.117:                              ;   in Loop: Header=BB3_79 Depth=1
	s_mov_b32 s9, exec_lo
                                        ; implicit-def: $vgpr8
	v_cmpx_lt_u32_e32 0x3c7fffff, v12
	s_xor_b32 s9, exec_lo, s9
; %bb.118:                              ;   in Loop: Header=BB3_79 Depth=1
	v_bfe_u32 v8, v7, 20, 1
	s_delay_alu instid0(VALU_DEP_1) | instskip(NEXT) | instid1(VALU_DEP_1)
	v_add3_u32 v8, v7, v8, 0x407ffff
	v_lshrrev_b32_e32 v8, 20, v8
; %bb.119:                              ;   in Loop: Header=BB3_79 Depth=1
	s_and_not1_saveexec_b32 s9, s9
; %bb.120:                              ;   in Loop: Header=BB3_79 Depth=1
	v_add_f32_e64 v8, 0x46800000, |v7|
; %bb.121:                              ;   in Loop: Header=BB3_79 Depth=1
	s_or_b32 exec_lo, exec_lo, s9
.LBB3_122:                              ;   in Loop: Header=BB3_79 Depth=1
	s_delay_alu instid0(SALU_CYCLE_1) | instskip(SKIP_2) | instid1(VALU_DEP_1)
	s_or_b32 exec_lo, exec_lo, s8
	v_mul_f32_e32 v5, v14, v5
	s_mov_b32 s8, exec_lo
	v_mul_f32_e32 v5, v5, v9
	s_delay_alu instid0(VALU_DEP_1) | instskip(NEXT) | instid1(VALU_DEP_1)
	v_div_scale_f32 v9, null, v15, v15, v5
	v_rcp_f32_e32 v12, v9
	v_nop
	s_delay_alu instid0(TRANS32_DEP_1) | instskip(NEXT) | instid1(VALU_DEP_1)
	v_fma_f32 v13, -v9, v12, 1.0
	v_fmac_f32_e32 v12, v13, v12
	v_div_scale_f32 v13, vcc_lo, v5, v15, v5
	s_delay_alu instid0(VALU_DEP_1) | instskip(NEXT) | instid1(VALU_DEP_1)
	v_mul_f32_e32 v16, v13, v12
	v_fma_f32 v17, -v9, v16, v13
	s_delay_alu instid0(VALU_DEP_1) | instskip(NEXT) | instid1(VALU_DEP_1)
	v_fmac_f32_e32 v16, v17, v12
	v_fma_f32 v9, -v9, v16, v13
	s_delay_alu instid0(VALU_DEP_1) | instskip(NEXT) | instid1(VALU_DEP_1)
	v_div_fmas_f32 v9, v9, v12, v16
	v_div_fixup_f32 v5, v9, v15, v5
	s_delay_alu instid0(VALU_DEP_1) | instskip(NEXT) | instid1(VALU_DEP_1)
	v_minmax_num_f32 v5, v5, s5, 0xc3e00000
	v_and_b32_e32 v9, 0x7fffffff, v5
	s_delay_alu instid0(VALU_DEP_1)
	v_cmpx_gt_u32_e32 0x43f00000, v9
	s_cbranch_execz .LBB3_128
; %bb.123:                              ;   in Loop: Header=BB3_79 Depth=1
	s_mov_b32 s9, exec_lo
                                        ; implicit-def: $vgpr4
	v_cmpx_lt_u32_e32 0x3c7fffff, v9
	s_xor_b32 s9, exec_lo, s9
; %bb.124:                              ;   in Loop: Header=BB3_79 Depth=1
	v_bfe_u32 v4, v5, 20, 1
	s_delay_alu instid0(VALU_DEP_1) | instskip(NEXT) | instid1(VALU_DEP_1)
	v_add3_u32 v4, v5, v4, 0x407ffff
	v_lshrrev_b32_e32 v4, 20, v4
; %bb.125:                              ;   in Loop: Header=BB3_79 Depth=1
	s_and_not1_saveexec_b32 s9, s9
; %bb.126:                              ;   in Loop: Header=BB3_79 Depth=1
	v_add_f32_e64 v4, 0x46800000, |v5|
; %bb.127:                              ;   in Loop: Header=BB3_79 Depth=1
	s_or_b32 exec_lo, exec_lo, s9
.LBB3_128:                              ;   in Loop: Header=BB3_79 Depth=1
	s_delay_alu instid0(SALU_CYCLE_1) | instskip(SKIP_1) | instid1(VALU_DEP_2)
	s_or_b32 exec_lo, exec_lo, s8
	v_dual_lshrrev_b32 v7, 24, v7 :: v_dual_lshrrev_b32 v2, 24, v2
	v_dual_lshrrev_b32 v3, 24, v3 :: v_dual_lshlrev_b32 v4, 24, v4
	v_and_b32_e32 v5, 0x80000000, v5
	s_delay_alu instid0(VALU_DEP_3) | instskip(SKIP_1) | instid1(VALU_DEP_4)
	v_and_b32_e32 v7, 0x80, v7
	v_and_b32_e32 v6, 0xff, v6
	;; [unrolled: 1-line block ×3, first 2 shown]
	s_mov_b32 s9, -1
	s_mov_b32 s8, exec_lo
	v_and_or_b32 v7, 0xff, v8, v7
	v_add_nc_u32_e32 v12, s2, v0
	v_and_or_b32 v3, 0xff, v11, v3
	s_delay_alu instid0(VALU_DEP_3) | instskip(NEXT) | instid1(VALU_DEP_2)
	v_dual_mov_b32 v11, v1 :: v_dual_lshlrev_b32 v7, 16, v7
	v_lshlrev_b32_e32 v8, 8, v3
	s_delay_alu instid0(VALU_DEP_2) | instskip(SKIP_1) | instid1(VALU_DEP_4)
	v_or3_b32 v4, v5, v4, v7
	v_and_or_b32 v5, 0x80, v2, v6
	v_lshl_add_u64 v[2:3], v[10:11], 2, s[0:1]
	s_delay_alu instid0(VALU_DEP_2)
	v_or3_b32 v4, v4, v8, v5
	global_store_b32 v[2:3], v4, off
	s_wait_xcnt 0x0
	v_cmpx_gt_u32_e64 s28, v12
	s_cbranch_execz .LBB3_77
; %bb.129:                              ;   in Loop: Header=BB3_79 Depth=1
	s_clause 0x1
	global_load_b128 v[2:5], v12, s[10:11] scale_offset
	global_load_b128 v[6:9], v12, s[18:19] scale_offset
	s_mov_b32 s9, exec_lo
	s_wait_loadcnt 0x1
	v_mul_f32_e32 v2, v14, v2
	s_wait_loadcnt 0x0
	s_delay_alu instid0(VALU_DEP_1) | instskip(NEXT) | instid1(VALU_DEP_1)
	v_mul_f32_e32 v2, v2, v6
	v_div_scale_f32 v6, null, v15, v15, v2
	v_div_scale_f32 v16, vcc_lo, v2, v15, v2
	s_delay_alu instid0(VALU_DEP_2) | instskip(SKIP_1) | instid1(TRANS32_DEP_1)
	v_rcp_f32_e32 v11, v6
	v_nop
	v_fma_f32 v13, -v6, v11, 1.0
	s_delay_alu instid0(VALU_DEP_1) | instskip(NEXT) | instid1(VALU_DEP_1)
	v_fmac_f32_e32 v11, v13, v11
	v_mul_f32_e32 v13, v16, v11
	s_delay_alu instid0(VALU_DEP_1) | instskip(NEXT) | instid1(VALU_DEP_1)
	v_fma_f32 v17, -v6, v13, v16
	v_fmac_f32_e32 v13, v17, v11
	s_delay_alu instid0(VALU_DEP_1) | instskip(NEXT) | instid1(VALU_DEP_1)
	v_fma_f32 v6, -v6, v13, v16
	v_div_fmas_f32 v6, v6, v11, v13
	v_mov_b32_e32 v11, 0x7f
	s_delay_alu instid0(VALU_DEP_2) | instskip(SKIP_1) | instid1(VALU_DEP_2)
	v_div_fixup_f32 v2, v6, v15, v2
	v_mov_b32_e32 v6, 0x7f
	v_minmax_num_f32 v2, v2, s5, 0xc3e00000
	s_delay_alu instid0(VALU_DEP_1) | instskip(SKIP_1) | instid1(VALU_DEP_1)
	v_and_b32_e32 v13, 0x7fffffff, v2
	s_wait_xcnt 0x0
	v_cmpx_gt_u32_e32 0x43f00000, v13
	s_cbranch_execz .LBB3_135
; %bb.130:                              ;   in Loop: Header=BB3_79 Depth=1
	s_mov_b32 s12, exec_lo
                                        ; implicit-def: $vgpr6
	v_cmpx_lt_u32_e32 0x3c7fffff, v13
	s_xor_b32 s12, exec_lo, s12
; %bb.131:                              ;   in Loop: Header=BB3_79 Depth=1
	v_bfe_u32 v6, v2, 20, 1
	s_delay_alu instid0(VALU_DEP_1) | instskip(NEXT) | instid1(VALU_DEP_1)
	v_add3_u32 v6, v2, v6, 0x407ffff
	v_lshrrev_b32_e32 v6, 20, v6
; %bb.132:                              ;   in Loop: Header=BB3_79 Depth=1
	s_and_not1_saveexec_b32 s12, s12
; %bb.133:                              ;   in Loop: Header=BB3_79 Depth=1
	v_add_f32_e64 v6, 0x46800000, |v2|
; %bb.134:                              ;   in Loop: Header=BB3_79 Depth=1
	s_or_b32 exec_lo, exec_lo, s12
.LBB3_135:                              ;   in Loop: Header=BB3_79 Depth=1
	s_delay_alu instid0(SALU_CYCLE_1) | instskip(SKIP_2) | instid1(VALU_DEP_1)
	s_or_b32 exec_lo, exec_lo, s9
	v_mul_f32_e32 v3, v14, v3
	s_mov_b32 s9, exec_lo
	v_mul_f32_e32 v3, v3, v7
	s_delay_alu instid0(VALU_DEP_1) | instskip(NEXT) | instid1(VALU_DEP_1)
	v_div_scale_f32 v7, null, v15, v15, v3
	v_rcp_f32_e32 v13, v7
	v_nop
	s_delay_alu instid0(TRANS32_DEP_1) | instskip(NEXT) | instid1(VALU_DEP_1)
	v_fma_f32 v16, -v7, v13, 1.0
	v_fmac_f32_e32 v13, v16, v13
	v_div_scale_f32 v16, vcc_lo, v3, v15, v3
	s_delay_alu instid0(VALU_DEP_1) | instskip(NEXT) | instid1(VALU_DEP_1)
	v_mul_f32_e32 v17, v16, v13
	v_fma_f32 v18, -v7, v17, v16
	s_delay_alu instid0(VALU_DEP_1) | instskip(NEXT) | instid1(VALU_DEP_1)
	v_fmac_f32_e32 v17, v18, v13
	v_fma_f32 v7, -v7, v17, v16
	s_delay_alu instid0(VALU_DEP_1) | instskip(NEXT) | instid1(VALU_DEP_1)
	v_div_fmas_f32 v7, v7, v13, v17
	v_div_fixup_f32 v3, v7, v15, v3
	s_delay_alu instid0(VALU_DEP_1) | instskip(NEXT) | instid1(VALU_DEP_1)
	v_minmax_num_f32 v3, v3, s5, 0xc3e00000
	v_and_b32_e32 v7, 0x7fffffff, v3
	s_delay_alu instid0(VALU_DEP_1)
	v_cmpx_gt_u32_e32 0x43f00000, v7
	s_cbranch_execz .LBB3_141
; %bb.136:                              ;   in Loop: Header=BB3_79 Depth=1
	s_mov_b32 s12, exec_lo
                                        ; implicit-def: $vgpr11
	v_cmpx_lt_u32_e32 0x3c7fffff, v7
	s_xor_b32 s12, exec_lo, s12
; %bb.137:                              ;   in Loop: Header=BB3_79 Depth=1
	v_bfe_u32 v7, v3, 20, 1
	s_delay_alu instid0(VALU_DEP_1) | instskip(NEXT) | instid1(VALU_DEP_1)
	v_add3_u32 v7, v3, v7, 0x407ffff
	v_lshrrev_b32_e32 v11, 20, v7
; %bb.138:                              ;   in Loop: Header=BB3_79 Depth=1
	s_and_not1_saveexec_b32 s12, s12
; %bb.139:                              ;   in Loop: Header=BB3_79 Depth=1
	v_add_f32_e64 v11, 0x46800000, |v3|
; %bb.140:                              ;   in Loop: Header=BB3_79 Depth=1
	s_or_b32 exec_lo, exec_lo, s12
.LBB3_141:                              ;   in Loop: Header=BB3_79 Depth=1
	s_delay_alu instid0(SALU_CYCLE_1) | instskip(SKIP_2) | instid1(VALU_DEP_1)
	s_or_b32 exec_lo, exec_lo, s9
	v_mul_f32_e32 v4, v14, v4
	s_mov_b32 s9, exec_lo
	v_mul_f32_e32 v4, v4, v8
	s_delay_alu instid0(VALU_DEP_1) | instskip(NEXT) | instid1(VALU_DEP_1)
	v_div_scale_f32 v7, null, v15, v15, v4
	v_rcp_f32_e32 v8, v7
	v_nop
	s_delay_alu instid0(TRANS32_DEP_1) | instskip(NEXT) | instid1(VALU_DEP_1)
	v_fma_f32 v13, -v7, v8, 1.0
	v_fmac_f32_e32 v8, v13, v8
	v_div_scale_f32 v16, vcc_lo, v4, v15, v4
	s_delay_alu instid0(VALU_DEP_1) | instskip(NEXT) | instid1(VALU_DEP_1)
	v_mul_f32_e32 v13, v16, v8
	v_fma_f32 v17, -v7, v13, v16
	s_delay_alu instid0(VALU_DEP_1) | instskip(NEXT) | instid1(VALU_DEP_1)
	v_fmac_f32_e32 v13, v17, v8
	v_fma_f32 v7, -v7, v13, v16
	s_delay_alu instid0(VALU_DEP_1) | instskip(SKIP_1) | instid1(VALU_DEP_2)
	v_div_fmas_f32 v7, v7, v8, v13
	v_mov_b32_e32 v8, 0x7f
	v_div_fixup_f32 v4, v7, v15, v4
	s_delay_alu instid0(VALU_DEP_1) | instskip(SKIP_1) | instid1(VALU_DEP_2)
	v_minmax_num_f32 v7, v4, s5, 0xc3e00000
	v_mov_b32_e32 v4, 0x7f
	v_and_b32_e32 v13, 0x7fffffff, v7
	s_delay_alu instid0(VALU_DEP_1)
	v_cmpx_gt_u32_e32 0x43f00000, v13
	s_cbranch_execz .LBB3_147
; %bb.142:                              ;   in Loop: Header=BB3_79 Depth=1
	s_mov_b32 s12, exec_lo
                                        ; implicit-def: $vgpr8
	v_cmpx_lt_u32_e32 0x3c7fffff, v13
	s_xor_b32 s12, exec_lo, s12
; %bb.143:                              ;   in Loop: Header=BB3_79 Depth=1
	v_bfe_u32 v8, v7, 20, 1
	s_delay_alu instid0(VALU_DEP_1) | instskip(NEXT) | instid1(VALU_DEP_1)
	v_add3_u32 v8, v7, v8, 0x407ffff
	v_lshrrev_b32_e32 v8, 20, v8
; %bb.144:                              ;   in Loop: Header=BB3_79 Depth=1
	s_and_not1_saveexec_b32 s12, s12
; %bb.145:                              ;   in Loop: Header=BB3_79 Depth=1
	v_add_f32_e64 v8, 0x46800000, |v7|
; %bb.146:                              ;   in Loop: Header=BB3_79 Depth=1
	s_or_b32 exec_lo, exec_lo, s12
.LBB3_147:                              ;   in Loop: Header=BB3_79 Depth=1
	s_delay_alu instid0(SALU_CYCLE_1) | instskip(SKIP_2) | instid1(VALU_DEP_1)
	s_or_b32 exec_lo, exec_lo, s9
	v_mul_f32_e32 v5, v14, v5
	s_mov_b32 s9, exec_lo
	v_mul_f32_e32 v5, v5, v9
	s_delay_alu instid0(VALU_DEP_1) | instskip(NEXT) | instid1(VALU_DEP_1)
	v_div_scale_f32 v9, null, v15, v15, v5
	v_rcp_f32_e32 v13, v9
	v_nop
	s_delay_alu instid0(TRANS32_DEP_1) | instskip(NEXT) | instid1(VALU_DEP_1)
	v_fma_f32 v16, -v9, v13, 1.0
	v_fmac_f32_e32 v13, v16, v13
	v_div_scale_f32 v16, vcc_lo, v5, v15, v5
	s_delay_alu instid0(VALU_DEP_1) | instskip(NEXT) | instid1(VALU_DEP_1)
	v_mul_f32_e32 v17, v16, v13
	v_fma_f32 v18, -v9, v17, v16
	s_delay_alu instid0(VALU_DEP_1) | instskip(NEXT) | instid1(VALU_DEP_1)
	v_fmac_f32_e32 v17, v18, v13
	v_fma_f32 v9, -v9, v17, v16
	s_delay_alu instid0(VALU_DEP_1) | instskip(NEXT) | instid1(VALU_DEP_1)
	v_div_fmas_f32 v9, v9, v13, v17
	v_div_fixup_f32 v5, v9, v15, v5
	s_delay_alu instid0(VALU_DEP_1) | instskip(NEXT) | instid1(VALU_DEP_1)
	v_minmax_num_f32 v5, v5, s5, 0xc3e00000
	v_and_b32_e32 v9, 0x7fffffff, v5
	s_delay_alu instid0(VALU_DEP_1)
	v_cmpx_gt_u32_e32 0x43f00000, v9
	s_cbranch_execz .LBB3_153
; %bb.148:                              ;   in Loop: Header=BB3_79 Depth=1
	s_mov_b32 s12, exec_lo
                                        ; implicit-def: $vgpr4
	v_cmpx_lt_u32_e32 0x3c7fffff, v9
	s_xor_b32 s12, exec_lo, s12
; %bb.149:                              ;   in Loop: Header=BB3_79 Depth=1
	v_bfe_u32 v4, v5, 20, 1
	s_delay_alu instid0(VALU_DEP_1) | instskip(NEXT) | instid1(VALU_DEP_1)
	v_add3_u32 v4, v5, v4, 0x407ffff
	v_lshrrev_b32_e32 v4, 20, v4
; %bb.150:                              ;   in Loop: Header=BB3_79 Depth=1
	s_and_not1_saveexec_b32 s12, s12
; %bb.151:                              ;   in Loop: Header=BB3_79 Depth=1
	v_add_f32_e64 v4, 0x46800000, |v5|
; %bb.152:                              ;   in Loop: Header=BB3_79 Depth=1
	s_or_b32 exec_lo, exec_lo, s12
.LBB3_153:                              ;   in Loop: Header=BB3_79 Depth=1
	s_delay_alu instid0(SALU_CYCLE_1) | instskip(SKIP_1) | instid1(VALU_DEP_2)
	s_or_b32 exec_lo, exec_lo, s9
	v_dual_lshrrev_b32 v7, 24, v7 :: v_dual_lshrrev_b32 v2, 24, v2
	v_dual_lshrrev_b32 v3, 24, v3 :: v_dual_lshlrev_b32 v4, 24, v4
	v_and_b32_e32 v5, 0x80000000, v5
	s_delay_alu instid0(VALU_DEP_3) | instskip(SKIP_1) | instid1(VALU_DEP_4)
	v_and_b32_e32 v7, 0x80, v7
	v_and_b32_e32 v6, 0xff, v6
	;; [unrolled: 1-line block ×3, first 2 shown]
	s_mov_b32 s12, -1
	s_mov_b32 s9, exec_lo
	v_and_or_b32 v7, 0xff, v8, v7
	v_mov_b32_e32 v13, v1
	v_and_or_b32 v3, 0xff, v11, v3
	s_delay_alu instid0(VALU_DEP_3) | instskip(NEXT) | instid1(VALU_DEP_2)
	v_dual_add_nc_u32 v0, s3, v0 :: v_dual_lshlrev_b32 v7, 16, v7
	v_lshlrev_b32_e32 v8, 8, v3
	s_delay_alu instid0(VALU_DEP_2) | instskip(SKIP_2) | instid1(VALU_DEP_2)
	v_or3_b32 v4, v5, v4, v7
	v_and_or_b32 v5, 0x80, v2, v6
	v_lshl_add_u64 v[2:3], v[12:13], 2, s[0:1]
	v_or3_b32 v4, v4, v8, v5
	global_store_b32 v[2:3], v4, off
	s_wait_xcnt 0x0
	v_cmpx_gt_u32_e64 s28, v0
	s_cbranch_execz .LBB3_76
; %bb.154:                              ;   in Loop: Header=BB3_79 Depth=1
	s_clause 0x1
	global_load_b128 v[2:5], v0, s[10:11] scale_offset
	global_load_b128 v[6:9], v0, s[18:19] scale_offset
	s_mov_b32 s12, exec_lo
	s_wait_loadcnt 0x1
	v_mul_f32_e32 v2, v14, v2
	s_wait_loadcnt 0x0
	s_delay_alu instid0(VALU_DEP_1) | instskip(NEXT) | instid1(VALU_DEP_1)
	v_mul_f32_e32 v2, v2, v6
	v_div_scale_f32 v6, null, v15, v15, v2
	v_div_scale_f32 v13, vcc_lo, v2, v15, v2
	s_delay_alu instid0(VALU_DEP_2) | instskip(SKIP_1) | instid1(TRANS32_DEP_1)
	v_rcp_f32_e32 v11, v6
	v_nop
	v_fma_f32 v12, -v6, v11, 1.0
	s_delay_alu instid0(VALU_DEP_1) | instskip(NEXT) | instid1(VALU_DEP_1)
	v_fmac_f32_e32 v11, v12, v11
	v_mul_f32_e32 v12, v13, v11
	s_delay_alu instid0(VALU_DEP_1) | instskip(NEXT) | instid1(VALU_DEP_1)
	v_fma_f32 v16, -v6, v12, v13
	v_fmac_f32_e32 v12, v16, v11
	s_delay_alu instid0(VALU_DEP_1) | instskip(NEXT) | instid1(VALU_DEP_1)
	v_fma_f32 v6, -v6, v12, v13
	v_div_fmas_f32 v6, v6, v11, v12
	v_mov_b32_e32 v11, 0x7f
	s_delay_alu instid0(VALU_DEP_2) | instskip(SKIP_1) | instid1(VALU_DEP_2)
	v_div_fixup_f32 v2, v6, v15, v2
	v_mov_b32_e32 v6, 0x7f
	v_minmax_num_f32 v2, v2, s5, 0xc3e00000
	s_delay_alu instid0(VALU_DEP_1) | instskip(SKIP_1) | instid1(VALU_DEP_1)
	v_and_b32_e32 v12, 0x7fffffff, v2
	s_wait_xcnt 0x0
	v_cmpx_gt_u32_e32 0x43f00000, v12
	s_cbranch_execz .LBB3_160
; %bb.155:                              ;   in Loop: Header=BB3_79 Depth=1
	s_mov_b32 s13, exec_lo
                                        ; implicit-def: $vgpr6
	v_cmpx_lt_u32_e32 0x3c7fffff, v12
	s_xor_b32 s13, exec_lo, s13
; %bb.156:                              ;   in Loop: Header=BB3_79 Depth=1
	v_bfe_u32 v6, v2, 20, 1
	s_delay_alu instid0(VALU_DEP_1) | instskip(NEXT) | instid1(VALU_DEP_1)
	v_add3_u32 v6, v2, v6, 0x407ffff
	v_lshrrev_b32_e32 v6, 20, v6
; %bb.157:                              ;   in Loop: Header=BB3_79 Depth=1
	s_and_not1_saveexec_b32 s13, s13
; %bb.158:                              ;   in Loop: Header=BB3_79 Depth=1
	v_add_f32_e64 v6, 0x46800000, |v2|
; %bb.159:                              ;   in Loop: Header=BB3_79 Depth=1
	s_or_b32 exec_lo, exec_lo, s13
.LBB3_160:                              ;   in Loop: Header=BB3_79 Depth=1
	s_delay_alu instid0(SALU_CYCLE_1) | instskip(SKIP_2) | instid1(VALU_DEP_1)
	s_or_b32 exec_lo, exec_lo, s12
	v_mul_f32_e32 v3, v14, v3
	s_mov_b32 s12, exec_lo
	v_mul_f32_e32 v3, v3, v7
	s_delay_alu instid0(VALU_DEP_1) | instskip(NEXT) | instid1(VALU_DEP_1)
	v_div_scale_f32 v7, null, v15, v15, v3
	v_rcp_f32_e32 v12, v7
	v_nop
	s_delay_alu instid0(TRANS32_DEP_1) | instskip(NEXT) | instid1(VALU_DEP_1)
	v_fma_f32 v13, -v7, v12, 1.0
	v_fmac_f32_e32 v12, v13, v12
	v_div_scale_f32 v13, vcc_lo, v3, v15, v3
	s_delay_alu instid0(VALU_DEP_1) | instskip(NEXT) | instid1(VALU_DEP_1)
	v_mul_f32_e32 v16, v13, v12
	v_fma_f32 v17, -v7, v16, v13
	s_delay_alu instid0(VALU_DEP_1) | instskip(NEXT) | instid1(VALU_DEP_1)
	v_fmac_f32_e32 v16, v17, v12
	v_fma_f32 v7, -v7, v16, v13
	s_delay_alu instid0(VALU_DEP_1) | instskip(NEXT) | instid1(VALU_DEP_1)
	v_div_fmas_f32 v7, v7, v12, v16
	v_div_fixup_f32 v3, v7, v15, v3
	s_delay_alu instid0(VALU_DEP_1) | instskip(NEXT) | instid1(VALU_DEP_1)
	v_minmax_num_f32 v3, v3, s5, 0xc3e00000
	v_and_b32_e32 v7, 0x7fffffff, v3
	s_delay_alu instid0(VALU_DEP_1)
	v_cmpx_gt_u32_e32 0x43f00000, v7
	s_cbranch_execz .LBB3_166
; %bb.161:                              ;   in Loop: Header=BB3_79 Depth=1
	s_mov_b32 s13, exec_lo
                                        ; implicit-def: $vgpr11
	v_cmpx_lt_u32_e32 0x3c7fffff, v7
	s_xor_b32 s13, exec_lo, s13
; %bb.162:                              ;   in Loop: Header=BB3_79 Depth=1
	v_bfe_u32 v7, v3, 20, 1
	s_delay_alu instid0(VALU_DEP_1) | instskip(NEXT) | instid1(VALU_DEP_1)
	v_add3_u32 v7, v3, v7, 0x407ffff
	v_lshrrev_b32_e32 v11, 20, v7
; %bb.163:                              ;   in Loop: Header=BB3_79 Depth=1
	s_and_not1_saveexec_b32 s13, s13
; %bb.164:                              ;   in Loop: Header=BB3_79 Depth=1
	v_add_f32_e64 v11, 0x46800000, |v3|
; %bb.165:                              ;   in Loop: Header=BB3_79 Depth=1
	s_or_b32 exec_lo, exec_lo, s13
.LBB3_166:                              ;   in Loop: Header=BB3_79 Depth=1
	s_delay_alu instid0(SALU_CYCLE_1) | instskip(SKIP_2) | instid1(VALU_DEP_1)
	s_or_b32 exec_lo, exec_lo, s12
	v_mul_f32_e32 v4, v14, v4
	s_mov_b32 s12, exec_lo
	v_mul_f32_e32 v4, v4, v8
	s_delay_alu instid0(VALU_DEP_1) | instskip(SKIP_1) | instid1(VALU_DEP_2)
	v_div_scale_f32 v7, null, v15, v15, v4
	v_div_scale_f32 v13, vcc_lo, v4, v15, v4
	v_rcp_f32_e32 v8, v7
	v_nop
	s_delay_alu instid0(TRANS32_DEP_1) | instskip(NEXT) | instid1(VALU_DEP_1)
	v_fma_f32 v12, -v7, v8, 1.0
	v_fmac_f32_e32 v8, v12, v8
	s_delay_alu instid0(VALU_DEP_1) | instskip(NEXT) | instid1(VALU_DEP_1)
	v_mul_f32_e32 v12, v13, v8
	v_fma_f32 v16, -v7, v12, v13
	s_delay_alu instid0(VALU_DEP_1) | instskip(NEXT) | instid1(VALU_DEP_1)
	v_fmac_f32_e32 v12, v16, v8
	v_fma_f32 v7, -v7, v12, v13
	s_delay_alu instid0(VALU_DEP_1) | instskip(SKIP_1) | instid1(VALU_DEP_2)
	v_div_fmas_f32 v7, v7, v8, v12
	v_mov_b32_e32 v8, 0x7f
	v_div_fixup_f32 v4, v7, v15, v4
	s_delay_alu instid0(VALU_DEP_1) | instskip(SKIP_1) | instid1(VALU_DEP_2)
	v_minmax_num_f32 v7, v4, s5, 0xc3e00000
	v_mov_b32_e32 v4, 0x7f
	v_and_b32_e32 v12, 0x7fffffff, v7
	s_delay_alu instid0(VALU_DEP_1)
	v_cmpx_gt_u32_e32 0x43f00000, v12
	s_cbranch_execz .LBB3_172
; %bb.167:                              ;   in Loop: Header=BB3_79 Depth=1
	s_mov_b32 s13, exec_lo
                                        ; implicit-def: $vgpr8
	v_cmpx_lt_u32_e32 0x3c7fffff, v12
	s_xor_b32 s13, exec_lo, s13
; %bb.168:                              ;   in Loop: Header=BB3_79 Depth=1
	v_bfe_u32 v8, v7, 20, 1
	s_delay_alu instid0(VALU_DEP_1) | instskip(NEXT) | instid1(VALU_DEP_1)
	v_add3_u32 v8, v7, v8, 0x407ffff
	v_lshrrev_b32_e32 v8, 20, v8
; %bb.169:                              ;   in Loop: Header=BB3_79 Depth=1
	s_and_not1_saveexec_b32 s13, s13
; %bb.170:                              ;   in Loop: Header=BB3_79 Depth=1
	v_add_f32_e64 v8, 0x46800000, |v7|
; %bb.171:                              ;   in Loop: Header=BB3_79 Depth=1
	s_or_b32 exec_lo, exec_lo, s13
.LBB3_172:                              ;   in Loop: Header=BB3_79 Depth=1
	s_delay_alu instid0(SALU_CYCLE_1) | instskip(SKIP_2) | instid1(VALU_DEP_1)
	s_or_b32 exec_lo, exec_lo, s12
	v_mul_f32_e32 v5, v14, v5
	s_mov_b32 s12, exec_lo
	v_mul_f32_e32 v5, v5, v9
	s_delay_alu instid0(VALU_DEP_1) | instskip(NEXT) | instid1(VALU_DEP_1)
	v_div_scale_f32 v9, null, v15, v15, v5
	v_rcp_f32_e32 v12, v9
	v_nop
	s_delay_alu instid0(TRANS32_DEP_1) | instskip(NEXT) | instid1(VALU_DEP_1)
	v_fma_f32 v13, -v9, v12, 1.0
	v_fmac_f32_e32 v12, v13, v12
	v_div_scale_f32 v13, vcc_lo, v5, v15, v5
	s_delay_alu instid0(VALU_DEP_1) | instskip(NEXT) | instid1(VALU_DEP_1)
	v_mul_f32_e32 v16, v13, v12
	v_fma_f32 v17, -v9, v16, v13
	s_delay_alu instid0(VALU_DEP_1) | instskip(NEXT) | instid1(VALU_DEP_1)
	v_fmac_f32_e32 v16, v17, v12
	v_fma_f32 v9, -v9, v16, v13
	s_delay_alu instid0(VALU_DEP_1) | instskip(NEXT) | instid1(VALU_DEP_1)
	v_div_fmas_f32 v9, v9, v12, v16
	v_div_fixup_f32 v5, v9, v15, v5
	s_delay_alu instid0(VALU_DEP_1) | instskip(NEXT) | instid1(VALU_DEP_1)
	v_minmax_num_f32 v5, v5, s5, 0xc3e00000
	v_and_b32_e32 v9, 0x7fffffff, v5
	s_delay_alu instid0(VALU_DEP_1)
	v_cmpx_gt_u32_e32 0x43f00000, v9
	s_cbranch_execz .LBB3_75
; %bb.173:                              ;   in Loop: Header=BB3_79 Depth=1
	s_mov_b32 s13, exec_lo
                                        ; implicit-def: $vgpr4
	v_cmpx_lt_u32_e32 0x3c7fffff, v9
	s_xor_b32 s13, exec_lo, s13
; %bb.174:                              ;   in Loop: Header=BB3_79 Depth=1
	v_bfe_u32 v4, v5, 20, 1
	s_delay_alu instid0(VALU_DEP_1) | instskip(NEXT) | instid1(VALU_DEP_1)
	v_add3_u32 v4, v5, v4, 0x407ffff
	v_lshrrev_b32_e32 v4, 20, v4
; %bb.175:                              ;   in Loop: Header=BB3_79 Depth=1
	s_and_not1_saveexec_b32 s13, s13
	s_cbranch_execz .LBB3_74
; %bb.176:                              ;   in Loop: Header=BB3_79 Depth=1
	v_add_f32_e64 v4, 0x46800000, |v5|
	s_branch .LBB3_74
.LBB3_177:
	s_endpgm
	.section	.rodata,"a",@progbits
	.p2align	6, 0x0
	.amdhsa_kernel _ZN4vllm39rms_norm_dynamic_per_token_quant_kernelIfN3c1013Float8_e4m3fnELb0EEEvPT0_PfPKT_S8_PKffiPS6_
		.amdhsa_group_segment_fixed_size 272
		.amdhsa_private_segment_fixed_size 0
		.amdhsa_kernarg_size 312
		.amdhsa_user_sgpr_count 2
		.amdhsa_user_sgpr_dispatch_ptr 0
		.amdhsa_user_sgpr_queue_ptr 0
		.amdhsa_user_sgpr_kernarg_segment_ptr 1
		.amdhsa_user_sgpr_dispatch_id 0
		.amdhsa_user_sgpr_kernarg_preload_length 0
		.amdhsa_user_sgpr_kernarg_preload_offset 0
		.amdhsa_user_sgpr_private_segment_size 0
		.amdhsa_wavefront_size32 1
		.amdhsa_uses_dynamic_stack 0
		.amdhsa_enable_private_segment 0
		.amdhsa_system_sgpr_workgroup_id_x 1
		.amdhsa_system_sgpr_workgroup_id_y 0
		.amdhsa_system_sgpr_workgroup_id_z 0
		.amdhsa_system_sgpr_workgroup_info 0
		.amdhsa_system_vgpr_workitem_id 0
		.amdhsa_next_free_vgpr 24
		.amdhsa_next_free_sgpr 37
		.amdhsa_named_barrier_count 0
		.amdhsa_reserve_vcc 1
		.amdhsa_float_round_mode_32 0
		.amdhsa_float_round_mode_16_64 0
		.amdhsa_float_denorm_mode_32 3
		.amdhsa_float_denorm_mode_16_64 3
		.amdhsa_fp16_overflow 0
		.amdhsa_memory_ordered 1
		.amdhsa_forward_progress 1
		.amdhsa_inst_pref_size 81
		.amdhsa_round_robin_scheduling 0
		.amdhsa_exception_fp_ieee_invalid_op 0
		.amdhsa_exception_fp_denorm_src 0
		.amdhsa_exception_fp_ieee_div_zero 0
		.amdhsa_exception_fp_ieee_overflow 0
		.amdhsa_exception_fp_ieee_underflow 0
		.amdhsa_exception_fp_ieee_inexact 0
		.amdhsa_exception_int_div_zero 0
	.end_amdhsa_kernel
	.section	.text._ZN4vllm39rms_norm_dynamic_per_token_quant_kernelIfN3c1013Float8_e4m3fnELb0EEEvPT0_PfPKT_S8_PKffiPS6_,"axG",@progbits,_ZN4vllm39rms_norm_dynamic_per_token_quant_kernelIfN3c1013Float8_e4m3fnELb0EEEvPT0_PfPKT_S8_PKffiPS6_,comdat
.Lfunc_end3:
	.size	_ZN4vllm39rms_norm_dynamic_per_token_quant_kernelIfN3c1013Float8_e4m3fnELb0EEEvPT0_PfPKT_S8_PKffiPS6_, .Lfunc_end3-_ZN4vllm39rms_norm_dynamic_per_token_quant_kernelIfN3c1013Float8_e4m3fnELb0EEEvPT0_PfPKT_S8_PKffiPS6_
                                        ; -- End function
	.set _ZN4vllm39rms_norm_dynamic_per_token_quant_kernelIfN3c1013Float8_e4m3fnELb0EEEvPT0_PfPKT_S8_PKffiPS6_.num_vgpr, 24
	.set _ZN4vllm39rms_norm_dynamic_per_token_quant_kernelIfN3c1013Float8_e4m3fnELb0EEEvPT0_PfPKT_S8_PKffiPS6_.num_agpr, 0
	.set _ZN4vllm39rms_norm_dynamic_per_token_quant_kernelIfN3c1013Float8_e4m3fnELb0EEEvPT0_PfPKT_S8_PKffiPS6_.numbered_sgpr, 37
	.set _ZN4vllm39rms_norm_dynamic_per_token_quant_kernelIfN3c1013Float8_e4m3fnELb0EEEvPT0_PfPKT_S8_PKffiPS6_.num_named_barrier, 0
	.set _ZN4vllm39rms_norm_dynamic_per_token_quant_kernelIfN3c1013Float8_e4m3fnELb0EEEvPT0_PfPKT_S8_PKffiPS6_.private_seg_size, 0
	.set _ZN4vllm39rms_norm_dynamic_per_token_quant_kernelIfN3c1013Float8_e4m3fnELb0EEEvPT0_PfPKT_S8_PKffiPS6_.uses_vcc, 1
	.set _ZN4vllm39rms_norm_dynamic_per_token_quant_kernelIfN3c1013Float8_e4m3fnELb0EEEvPT0_PfPKT_S8_PKffiPS6_.uses_flat_scratch, 0
	.set _ZN4vllm39rms_norm_dynamic_per_token_quant_kernelIfN3c1013Float8_e4m3fnELb0EEEvPT0_PfPKT_S8_PKffiPS6_.has_dyn_sized_stack, 0
	.set _ZN4vllm39rms_norm_dynamic_per_token_quant_kernelIfN3c1013Float8_e4m3fnELb0EEEvPT0_PfPKT_S8_PKffiPS6_.has_recursion, 0
	.set _ZN4vllm39rms_norm_dynamic_per_token_quant_kernelIfN3c1013Float8_e4m3fnELb0EEEvPT0_PfPKT_S8_PKffiPS6_.has_indirect_call, 0
	.section	.AMDGPU.csdata,"",@progbits
; Kernel info:
; codeLenInByte = 10312
; TotalNumSgprs: 39
; NumVgprs: 24
; ScratchSize: 0
; MemoryBound: 0
; FloatMode: 240
; IeeeMode: 1
; LDSByteSize: 272 bytes/workgroup (compile time only)
; SGPRBlocks: 0
; VGPRBlocks: 1
; NumSGPRsForWavesPerEU: 39
; NumVGPRsForWavesPerEU: 24
; NamedBarCnt: 0
; Occupancy: 16
; WaveLimiterHint : 0
; COMPUTE_PGM_RSRC2:SCRATCH_EN: 0
; COMPUTE_PGM_RSRC2:USER_SGPR: 2
; COMPUTE_PGM_RSRC2:TRAP_HANDLER: 0
; COMPUTE_PGM_RSRC2:TGID_X_EN: 1
; COMPUTE_PGM_RSRC2:TGID_Y_EN: 0
; COMPUTE_PGM_RSRC2:TGID_Z_EN: 0
; COMPUTE_PGM_RSRC2:TIDIG_COMP_CNT: 0
	.section	.text._ZN4vllm39rms_norm_dynamic_per_token_quant_kernelIfN3c1015Float8_e4m3fnuzELb0EEEvPT0_PfPKT_S8_PKffiPS6_,"axG",@progbits,_ZN4vllm39rms_norm_dynamic_per_token_quant_kernelIfN3c1015Float8_e4m3fnuzELb0EEEvPT0_PfPKT_S8_PKffiPS6_,comdat
	.protected	_ZN4vllm39rms_norm_dynamic_per_token_quant_kernelIfN3c1015Float8_e4m3fnuzELb0EEEvPT0_PfPKT_S8_PKffiPS6_ ; -- Begin function _ZN4vllm39rms_norm_dynamic_per_token_quant_kernelIfN3c1015Float8_e4m3fnuzELb0EEEvPT0_PfPKT_S8_PKffiPS6_
	.globl	_ZN4vllm39rms_norm_dynamic_per_token_quant_kernelIfN3c1015Float8_e4m3fnuzELb0EEEvPT0_PfPKT_S8_PKffiPS6_
	.p2align	8
	.type	_ZN4vllm39rms_norm_dynamic_per_token_quant_kernelIfN3c1015Float8_e4m3fnuzELb0EEEvPT0_PfPKT_S8_PKffiPS6_,@function
_ZN4vllm39rms_norm_dynamic_per_token_quant_kernelIfN3c1015Float8_e4m3fnuzELb0EEEvPT0_PfPKT_S8_PKffiPS6_: ; @_ZN4vllm39rms_norm_dynamic_per_token_quant_kernelIfN3c1015Float8_e4m3fnuzELb0EEEvPT0_PfPKT_S8_PKffiPS6_
; %bb.0:
	s_clause 0x1
	s_load_b128 s[20:23], s[0:1], 0x20
	s_load_b256 s[12:19], s[0:1], 0x0
	s_getreg_b32 s26, hwreg(HW_REG_IB_STS2, 6, 4)
	s_wait_kmcnt 0x0
	s_and_b32 s2, s23, 3
	s_delay_alu instid0(SALU_CYCLE_1)
	s_cmp_lg_u32 s2, 0
	s_cbranch_scc0 .LBB4_39
; %bb.1:
	s_bfe_u32 s2, ttmp6, 0x4000c
	s_and_b32 s3, ttmp6, 15
	s_add_co_i32 s2, s2, 1
	s_delay_alu instid0(SALU_CYCLE_1)
	s_mul_i32 s4, ttmp9, s2
	v_cmp_gt_u32_e64 s2, s23, v0
	s_add_co_i32 s4, s3, s4
	v_cmp_le_u32_e64 s3, s23, v0
	s_cmp_eq_u32 s26, 0
	s_cselect_b32 s24, ttmp9, s4
                                        ; implicit-def: $sgpr4_sgpr5
	s_and_saveexec_b32 s6, s3
	s_delay_alu instid0(SALU_CYCLE_1)
	s_xor_b32 s6, exec_lo, s6
; %bb.2:
	s_add_nc_u64 s[4:5], s[0:1], 56
; %bb.3:
	s_or_saveexec_b32 s8, s6
	v_mov_b64_e32 v[2:3], s[4:5]
	v_mov_b32_e32 v5, 0
	s_xor_b32 exec_lo, exec_lo, s8
	s_cbranch_execz .LBB4_7
; %bb.4:
	s_load_b32 s9, s[0:1], 0x44
	s_ashr_i32 s5, s23, 31
	s_mov_b32 s4, s23
	s_mov_b32 s25, 0
	v_dual_mov_b32 v5, 0 :: v_dual_mov_b32 v1, v0
	s_mul_u64 s[4:5], s[4:5], s[24:25]
	s_delay_alu instid0(SALU_CYCLE_1) | instskip(NEXT) | instid1(SALU_CYCLE_1)
	s_lshl_b64 s[4:5], s[4:5], 2
	s_add_nc_u64 s[6:7], s[16:17], s[4:5]
	s_add_nc_u64 s[4:5], s[0:1], 56
	s_wait_kmcnt 0x0
	s_and_b32 s9, s9, 0xffff
.LBB4_5:                                ; =>This Inner Loop Header: Depth=1
	global_load_b32 v2, v1, s[6:7] scale_offset
	s_wait_loadcnt 0x0
	v_dual_add_nc_u32 v1, s9, v1 :: v_dual_fmac_f32 v5, v2, v2
	s_delay_alu instid0(VALU_DEP_1) | instskip(SKIP_1) | instid1(SALU_CYCLE_1)
	v_cmp_le_u32_e32 vcc_lo, s23, v1
	s_or_b32 s25, vcc_lo, s25
	s_and_not1_b32 exec_lo, exec_lo, s25
	s_cbranch_execnz .LBB4_5
; %bb.6:
	s_or_b32 exec_lo, exec_lo, s25
	v_mov_b64_e32 v[2:3], s[4:5]
.LBB4_7:
	s_or_b32 exec_lo, exec_lo, s8
	global_load_b32 v1, v[2:3], off
	v_mov_b32_e32 v7, 0
	v_mbcnt_lo_u32_b32 v4, -1, 0
	v_and_b32_e32 v10, 0x3c0, v0
	s_delay_alu instid0(VALU_DEP_2)
	v_cmp_eq_u32_e64 s4, 0, v4
	v_dual_add_nc_u32 v13, 2, v4 :: v_dual_add_nc_u32 v15, 4, v4
	v_dual_add_nc_u32 v18, 8, v4 :: v_dual_add_nc_u32 v17, 16, v4
	v_or_b32_e32 v19, 32, v4
	s_wait_loadcnt 0x0
	v_cmp_lt_u32_e32 vcc_lo, s24, v1
	v_cndmask_b32_e64 v6, 18, 12, vcc_lo
	v_cmp_ne_u32_e32 vcc_lo, 63, v4
	s_delay_alu instid0(VALU_DEP_2)
	v_add_nc_u64_e32 v[2:3], v[2:3], v[6:7]
	v_lshlrev_b32_e32 v7, 2, v4
	global_load_u16 v1, v[2:3], off
	s_wait_xcnt 0x0
	v_add_co_ci_u32_e64 v2, null, 0, v4, vcc_lo
	v_cmp_gt_u32_e32 vcc_lo, 62, v4
	s_delay_alu instid0(VALU_DEP_2)
	v_lshlrev_b32_e32 v9, 2, v2
	v_cndmask_b32_e64 v3, 0, 2, vcc_lo
	ds_bpermute_b32 v2, v9, v5
	v_add_nc_u32_e32 v8, 1, v4
	v_add_lshl_u32 v11, v3, v4, 2
	s_wait_dscnt 0x0
	v_add_f32_e32 v2, v5, v2
	s_wait_loadcnt 0x0
	v_sub_nc_u32_e64 v6, v1, v10 clamp
	s_delay_alu instid0(VALU_DEP_1) | instskip(NEXT) | instid1(VALU_DEP_3)
	v_cmp_lt_u32_e32 vcc_lo, v8, v6
	v_cndmask_b32_e32 v2, v5, v2, vcc_lo
	v_cmp_gt_u32_e32 vcc_lo, 60, v4
	ds_bpermute_b32 v3, v11, v2
	v_cndmask_b32_e64 v5, 0, 4, vcc_lo
	v_cmp_lt_u32_e32 vcc_lo, v13, v6
	s_delay_alu instid0(VALU_DEP_2) | instskip(SKIP_2) | instid1(VALU_DEP_1)
	v_add_lshl_u32 v12, v5, v4, 2
	s_wait_dscnt 0x0
	v_add_f32_e32 v3, v2, v3
	v_cndmask_b32_e32 v2, v2, v3, vcc_lo
	v_cmp_gt_u32_e32 vcc_lo, 56, v4
	ds_bpermute_b32 v3, v12, v2
	v_cndmask_b32_e64 v5, 0, 8, vcc_lo
	v_cmp_lt_u32_e32 vcc_lo, v15, v6
	s_delay_alu instid0(VALU_DEP_2) | instskip(SKIP_2) | instid1(VALU_DEP_1)
	v_add_lshl_u32 v14, v5, v4, 2
	s_wait_dscnt 0x0
	v_add_f32_e32 v3, v2, v3
	;; [unrolled: 9-line block ×3, first 2 shown]
	v_cndmask_b32_e32 v2, v2, v3, vcc_lo
	v_cmp_lt_u32_e32 vcc_lo, v17, v6
	ds_bpermute_b32 v3, v16, v2
	s_wait_dscnt 0x0
	v_add_f32_e32 v3, v2, v3
	s_delay_alu instid0(VALU_DEP_1) | instskip(SKIP_4) | instid1(VALU_DEP_1)
	v_cndmask_b32_e32 v2, v2, v3, vcc_lo
	v_cmp_lt_u32_e32 vcc_lo, v19, v6
	ds_bpermute_b32 v3, v7, v2 offset:128
	s_wait_dscnt 0x0
	v_add_f32_e32 v3, v2, v3
	v_cndmask_b32_e32 v2, v2, v3, vcc_lo
	s_and_saveexec_b32 s5, s4
; %bb.8:
	v_lshrrev_b32_e32 v3, 4, v0
	s_delay_alu instid0(VALU_DEP_1)
	v_and_b32_e32 v3, 60, v3
	ds_store_b32 v3, v2 offset:128
; %bb.9:
	s_or_b32 exec_lo, exec_lo, s5
	v_cmp_gt_u32_e64 s5, 16, v0
	v_and_b32_e32 v5, 15, v4
	v_or_b32_e32 v6, 32, v7
	s_wait_dscnt 0x0
	s_barrier_signal -1
	s_barrier_wait -1
	s_and_saveexec_b32 s7, s5
	s_cbranch_execz .LBB4_11
; %bb.10:
	ds_load_b32 v2, v7 offset:128
	v_cmp_ne_u32_e32 vcc_lo, 15, v5
	v_cmp_gt_u32_e64 s6, 12, v5
	v_add_nc_u32_e32 v1, 63, v1
	v_add_co_ci_u32_e64 v3, null, 0, v4, vcc_lo
	v_cmp_gt_u32_e32 vcc_lo, 14, v5
	s_delay_alu instid0(VALU_DEP_4) | instskip(NEXT) | instid1(VALU_DEP_3)
	v_cndmask_b32_e64 v22, 0, 4, s6
	v_lshlrev_b32_e32 v3, 2, v3
	v_cndmask_b32_e64 v21, 0, 2, vcc_lo
	s_delay_alu instid0(VALU_DEP_1)
	v_add_lshl_u32 v21, v21, v4, 2
	s_wait_dscnt 0x0
	ds_bpermute_b32 v3, v3, v2
	s_wait_dscnt 0x0
	v_dual_add_f32 v3, v2, v3 :: v_dual_add_nc_u32 v20, 1, v5
	v_lshrrev_b32_e32 v1, 6, v1
	s_delay_alu instid0(VALU_DEP_1) | instskip(NEXT) | instid1(VALU_DEP_3)
	v_cmp_lt_u32_e32 vcc_lo, v20, v1
	v_cndmask_b32_e32 v3, v2, v3, vcc_lo
	ds_bpermute_b32 v20, v21, v3
	s_wait_dscnt 0x0
	v_dual_add_f32 v20, v3, v20 :: v_dual_add_nc_u32 v21, 2, v5
	s_delay_alu instid0(VALU_DEP_1) | instskip(NEXT) | instid1(VALU_DEP_1)
	v_cmp_lt_u32_e64 s6, v21, v1
	v_dual_add_nc_u32 v21, 4, v5 :: v_dual_cndmask_b32 v3, v3, v20, s6
	v_add_lshl_u32 v20, v22, v4, 2
	s_delay_alu instid0(VALU_DEP_2) | instskip(SKIP_4) | instid1(VALU_DEP_1)
	v_cmp_lt_u32_e64 s6, v21, v1
	v_add_nc_u32_e32 v21, 8, v5
	ds_bpermute_b32 v20, v20, v3
	s_wait_dscnt 0x0
	v_add_f32_e32 v20, v3, v20
	v_cndmask_b32_e64 v3, v3, v20, s6
	v_cmp_lt_u32_e64 s6, v21, v1
	ds_bpermute_b32 v20, v6, v3
	s_wait_dscnt 0x0
	v_add_f32_e32 v20, v3, v20
	s_delay_alu instid0(VALU_DEP_1) | instskip(NEXT) | instid1(VALU_DEP_1)
	v_cndmask_b32_e64 v1, v3, v20, s6
	v_cndmask_b32_e32 v2, v2, v1, vcc_lo
.LBB4_11:
	s_or_b32 exec_lo, exec_lo, s7
	v_cmp_eq_u32_e64 s6, 0, v0
	s_mov_b32 s25, 0
	s_and_saveexec_b32 s7, s6
	s_cbranch_execz .LBB4_13
; %bb.12:
	s_cvt_f32_i32 s8, s23
	s_delay_alu instid0(SALU_CYCLE_3) | instskip(SKIP_1) | instid1(VALU_DEP_2)
	v_div_scale_f32 v1, null, s8, s8, v2
	v_div_scale_f32 v21, vcc_lo, v2, s8, v2
	v_rcp_f32_e32 v3, v1
	v_nop
	s_delay_alu instid0(TRANS32_DEP_1) | instskip(NEXT) | instid1(VALU_DEP_1)
	v_fma_f32 v20, -v1, v3, 1.0
	v_fmac_f32_e32 v3, v20, v3
	s_delay_alu instid0(VALU_DEP_1) | instskip(NEXT) | instid1(VALU_DEP_1)
	v_mul_f32_e32 v20, v21, v3
	v_fma_f32 v22, -v1, v20, v21
	s_delay_alu instid0(VALU_DEP_1) | instskip(NEXT) | instid1(VALU_DEP_1)
	v_fmac_f32_e32 v20, v22, v3
	v_fma_f32 v1, -v1, v20, v21
	s_delay_alu instid0(VALU_DEP_1) | instskip(NEXT) | instid1(VALU_DEP_1)
	v_div_fmas_f32 v1, v1, v3, v20
	v_div_fixup_f32 v1, v1, s8, v2
	s_delay_alu instid0(VALU_DEP_1) | instskip(NEXT) | instid1(VALU_DEP_1)
	v_add_f32_e32 v1, s22, v1
	v_mul_f32_e32 v2, 0x4b800000, v1
	v_cmp_gt_f32_e32 vcc_lo, 0x800000, v1
	s_delay_alu instid0(VALU_DEP_2) | instskip(NEXT) | instid1(VALU_DEP_1)
	v_cndmask_b32_e32 v1, v1, v2, vcc_lo
	v_rsq_f32_e32 v1, v1
	v_nop
	s_delay_alu instid0(TRANS32_DEP_1) | instskip(NEXT) | instid1(VALU_DEP_1)
	v_mul_f32_e32 v2, 0x45800000, v1
	v_dual_cndmask_b32 v1, v1, v2 :: v_dual_mov_b32 v2, 0
	ds_store_b32 v2, v1 offset:264
.LBB4_13:
	s_or_b32 exec_lo, exec_lo, s7
	v_mov_b32_e32 v20, 0
	s_wait_dscnt 0x0
	s_barrier_signal -1
	s_barrier_wait -1
	ds_load_b32 v1, v20 offset:264
                                        ; implicit-def: $sgpr8_sgpr9
	s_and_saveexec_b32 s7, s3
	s_delay_alu instid0(SALU_CYCLE_1)
	s_xor_b32 s3, exec_lo, s7
; %bb.14:
	s_add_nc_u64 s[8:9], s[0:1], 56
; %bb.15:
	s_or_saveexec_b32 s3, s3
	v_mov_b64_e32 v[2:3], s[8:9]
	s_xor_b32 exec_lo, exec_lo, s3
	s_cbranch_execz .LBB4_19
; %bb.16:
	s_load_b32 s7, s[0:1], 0x44
	s_ashr_i32 s11, s23, 31
	s_mov_b32 s10, s23
	v_dual_mov_b32 v20, 0 :: v_dual_mov_b32 v2, v0
	s_mul_u64 s[10:11], s[10:11], s[24:25]
	s_add_nc_u64 s[8:9], s[0:1], 56
	s_lshl_b64 s[10:11], s[10:11], 2
	s_delay_alu instid0(SALU_CYCLE_1)
	s_add_nc_u64 s[10:11], s[16:17], s[10:11]
	s_wait_kmcnt 0x0
	s_and_b32 s27, s7, 0xffff
	s_mov_b32 s7, 0
.LBB4_17:                               ; =>This Inner Loop Header: Depth=1
	s_clause 0x1
	global_load_b32 v3, v2, s[10:11] scale_offset
	global_load_b32 v21, v2, s[18:19] scale_offset
	s_wait_xcnt 0x0
	v_add_nc_u32_e32 v2, s27, v2
	s_delay_alu instid0(VALU_DEP_1) | instskip(SKIP_4) | instid1(VALU_DEP_1)
	v_cmp_le_u32_e32 vcc_lo, s23, v2
	s_or_b32 s7, vcc_lo, s7
	s_wait_loadcnt_dscnt 0x100
	v_dual_mul_f32 v3, v1, v3 :: v_dual_max_num_f32 v20, v20, v20
	s_wait_loadcnt 0x0
	v_mul_f32_e32 v3, v3, v21
	s_delay_alu instid0(VALU_DEP_1)
	v_max_num_f32_e64 v20, v20, |v3|
	s_and_not1_b32 exec_lo, exec_lo, s7
	s_cbranch_execnz .LBB4_17
; %bb.18:
	s_or_b32 exec_lo, exec_lo, s7
	v_mov_b64_e32 v[2:3], s[8:9]
.LBB4_19:
	s_or_b32 exec_lo, exec_lo, s3
	global_load_b32 v22, v[2:3], off
	v_mov_b32_e32 v23, 0
	v_or_b32_e32 v21, 0x80, v7
	s_wait_loadcnt 0x0
	v_cmp_lt_u32_e32 vcc_lo, s24, v22
	v_cndmask_b32_e64 v22, 18, 12, vcc_lo
	s_delay_alu instid0(VALU_DEP_1)
	v_add_nc_u64_e32 v[2:3], v[2:3], v[22:23]
	global_load_u16 v2, v[2:3], off
	s_wait_xcnt 0x0
	ds_bpermute_b32 v3, v9, v20
	s_wait_dscnt 0x0
	v_cmp_lt_f32_e32 vcc_lo, v20, v3
	v_cndmask_b32_e32 v3, v20, v3, vcc_lo
	s_wait_loadcnt 0x0
	v_sub_nc_u32_e64 v9, v2, v10 clamp
	s_delay_alu instid0(VALU_DEP_1)
	v_cmp_lt_u32_e32 vcc_lo, v8, v9
	v_cmp_lt_u32_e64 s10, v19, v9
	v_cndmask_b32_e32 v3, v20, v3, vcc_lo
	ds_bpermute_b32 v8, v11, v3
	s_wait_dscnt 0x0
	v_cmp_lt_f32_e64 s3, v3, v8
	s_delay_alu instid0(VALU_DEP_1) | instskip(SKIP_1) | instid1(VALU_DEP_1)
	v_cndmask_b32_e64 v8, v3, v8, s3
	v_cmp_lt_u32_e64 s3, v13, v9
	v_cndmask_b32_e64 v3, v3, v8, s3
	s_or_b32 s3, vcc_lo, s3
	ds_bpermute_b32 v8, v12, v3
	s_wait_dscnt 0x0
	v_cmp_lt_f32_e64 s7, v3, v8
	s_delay_alu instid0(VALU_DEP_1) | instskip(SKIP_1) | instid1(VALU_DEP_1)
	v_cndmask_b32_e64 v8, v3, v8, s7
	v_cmp_lt_u32_e64 s7, v15, v9
	v_cndmask_b32_e64 v3, v3, v8, s7
	s_or_b32 s3, s7, s3
	ds_bpermute_b32 v8, v14, v3
	s_wait_dscnt 0x0
	v_cmp_lt_f32_e64 s8, v3, v8
	s_delay_alu instid0(VALU_DEP_1) | instskip(SKIP_1) | instid1(VALU_DEP_1)
	v_cndmask_b32_e64 v8, v3, v8, s8
	v_cmp_lt_u32_e64 s8, v18, v9
	v_cndmask_b32_e64 v3, v3, v8, s8
	s_or_b32 s3, s8, s3
	;; [unrolled: 8-line block ×3, first 2 shown]
	ds_bpermute_b32 v8, v21, v3
	s_wait_dscnt 0x0
	v_cmp_lt_f32_e32 vcc_lo, v3, v8
	s_and_b32 vcc_lo, s10, vcc_lo
	v_cndmask_b32_e32 v3, v3, v8, vcc_lo
	s_or_b32 vcc_lo, s10, s3
	s_delay_alu instid0(VALU_DEP_1)
	v_cndmask_b32_e32 v3, v20, v3, vcc_lo
	s_and_saveexec_b32 s3, s4
; %bb.20:
	v_lshrrev_b32_e32 v8, 4, v0
	s_delay_alu instid0(VALU_DEP_1)
	v_and_b32_e32 v8, 60, v8
	ds_store_b32 v8, v3 offset:192
; %bb.21:
	s_or_b32 exec_lo, exec_lo, s3
	s_wait_dscnt 0x0
	s_barrier_signal -1
	s_barrier_wait -1
	s_and_saveexec_b32 s7, s5
	s_cbranch_execz .LBB4_23
; %bb.22:
	ds_load_b32 v3, v7 offset:192
	v_cmp_ne_u32_e32 vcc_lo, 15, v5
	v_cmp_gt_u32_e64 s3, 12, v5
	v_dual_add_nc_u32 v2, 63, v2 :: v_dual_add_nc_u32 v8, 1, v5
	v_add_co_ci_u32_e64 v7, null, 0, v4, vcc_lo
	v_cmp_gt_u32_e32 vcc_lo, 14, v5
	s_delay_alu instid0(VALU_DEP_4) | instskip(NEXT) | instid1(VALU_DEP_3)
	v_cndmask_b32_e64 v10, 0, 4, s3
	v_dual_lshrrev_b32 v2, 6, v2 :: v_dual_lshlrev_b32 v7, 2, v7
	v_cndmask_b32_e64 v9, 0, 2, vcc_lo
	s_delay_alu instid0(VALU_DEP_1) | instskip(NEXT) | instid1(VALU_DEP_4)
	v_add_lshl_u32 v9, v9, v4, 2
	v_add_lshl_u32 v4, v10, v4, 2
	s_wait_dscnt 0x0
	ds_bpermute_b32 v7, v7, v3
	s_wait_dscnt 0x0
	v_cmp_lt_f32_e32 vcc_lo, v3, v7
	v_cndmask_b32_e32 v7, v3, v7, vcc_lo
	v_cmp_lt_u32_e32 vcc_lo, v8, v2
	s_delay_alu instid0(VALU_DEP_2) | instskip(SKIP_4) | instid1(VALU_DEP_1)
	v_cndmask_b32_e32 v7, v3, v7, vcc_lo
	ds_bpermute_b32 v8, v9, v7
	v_add_nc_u32_e32 v9, 2, v5
	s_wait_dscnt 0x0
	v_cmp_lt_f32_e64 s3, v7, v8
	v_cndmask_b32_e64 v8, v7, v8, s3
	s_delay_alu instid0(VALU_DEP_3) | instskip(NEXT) | instid1(VALU_DEP_1)
	v_cmp_lt_u32_e64 s3, v9, v2
	v_dual_cndmask_b32 v7, v7, v8, s3 :: v_dual_add_nc_u32 v8, 4, v5
	v_add_nc_u32_e32 v5, 8, v5
	ds_bpermute_b32 v4, v4, v7
	s_wait_dscnt 0x0
	v_cmp_lt_f32_e64 s3, v7, v4
	s_delay_alu instid0(VALU_DEP_1) | instskip(SKIP_1) | instid1(VALU_DEP_1)
	v_cndmask_b32_e64 v4, v7, v4, s3
	v_cmp_lt_u32_e64 s3, v8, v2
	v_cndmask_b32_e64 v4, v7, v4, s3
	v_cmp_lt_u32_e64 s3, v5, v2
	ds_bpermute_b32 v6, v6, v4
	s_wait_dscnt 0x0
	v_cmp_lt_f32_e64 s4, v4, v6
	s_and_b32 s3, s3, s4
	s_delay_alu instid0(SALU_CYCLE_1) | instskip(NEXT) | instid1(VALU_DEP_1)
	v_cndmask_b32_e64 v2, v4, v6, s3
	v_cndmask_b32_e32 v3, v3, v2, vcc_lo
.LBB4_23:
	s_or_b32 exec_lo, exec_lo, s7
	s_and_saveexec_b32 s3, s6
	s_cbranch_execz .LBB4_27
; %bb.24:
	s_cmp_eq_u64 s[20:21], 0
	s_cbranch_scc1 .LBB4_26
; %bb.25:
	s_load_b32 s4, s[20:21], 0x0
	v_max_num_f32_e32 v2, v3, v3
	s_wait_kmcnt 0x0
	v_max_num_f32_e64 v3, s4, s4
	s_delay_alu instid0(VALU_DEP_1)
	v_min_num_f32_e32 v3, v2, v3
.LBB4_26:
	s_delay_alu instid0(VALU_DEP_1)
	v_div_scale_f32 v2, null, 0x43600000, 0x43600000, v3
	v_div_scale_f32 v6, vcc_lo, v3, 0x43600000, v3
	s_lshl_b64 s[4:5], s[24:25], 2
	v_rcp_f32_e32 v4, v2
	s_add_nc_u64 s[4:5], s[14:15], s[4:5]
	v_nop
	s_delay_alu instid0(TRANS32_DEP_1) | instskip(NEXT) | instid1(VALU_DEP_1)
	v_fma_f32 v5, -v2, v4, 1.0
	v_fmac_f32_e32 v4, v5, v4
	s_delay_alu instid0(VALU_DEP_1) | instskip(NEXT) | instid1(VALU_DEP_1)
	v_mul_f32_e32 v5, v6, v4
	v_fma_f32 v7, -v2, v5, v6
	s_delay_alu instid0(VALU_DEP_1) | instskip(NEXT) | instid1(VALU_DEP_1)
	v_fmac_f32_e32 v5, v7, v4
	v_fma_f32 v2, -v2, v5, v6
	s_delay_alu instid0(VALU_DEP_1) | instskip(NEXT) | instid1(VALU_DEP_1)
	v_div_fmas_f32 v2, v2, v4, v5
	v_div_fixup_f32 v2, v2, 0x43600000, v3
	s_delay_alu instid0(VALU_DEP_1)
	v_dual_mov_b32 v3, 0 :: v_dual_max_num_f32 v2, 0x37124925, v2
	ds_store_b32 v3, v2 offset:268
	global_store_b32 v3, v2, s[4:5]
.LBB4_27:
	s_wait_xcnt 0x0
	s_or_b32 exec_lo, exec_lo, s3
	s_wait_storecnt_dscnt 0x0
	s_barrier_signal -1
	s_barrier_wait -1
	s_and_saveexec_b32 s4, s2
	s_cbranch_execz .LBB4_38
; %bb.28:
	v_dual_mov_b32 v3, 0 :: v_dual_mov_b32 v2, v0
	s_load_b32 s5, s[0:1], 0x44
	s_ashr_i32 s3, s23, 31
	s_mov_b32 s2, s23
	ds_load_b32 v6, v3 offset:268
	s_mul_u64 s[2:3], s[2:3], s[24:25]
	s_mov_b32 s6, 0
	s_mov_b32 s7, 0x43600000
	s_wait_kmcnt 0x0
	s_and_b32 s5, s5, 0xffff
	s_branch .LBB4_31
.LBB4_29:                               ;   in Loop: Header=BB4_31 Depth=1
	s_or_b32 exec_lo, exec_lo, s10
.LBB4_30:                               ;   in Loop: Header=BB4_31 Depth=1
	s_delay_alu instid0(SALU_CYCLE_1) | instskip(SKIP_2) | instid1(VALU_DEP_2)
	s_or_b32 exec_lo, exec_lo, s8
	v_add_nc_u32_e32 v2, s5, v2
	v_add_nc_u64_e32 v[4:5], s[12:13], v[4:5]
	v_cmp_le_u32_e32 vcc_lo, s23, v2
	global_store_b8 v[4:5], v9, off
	s_or_b32 s6, vcc_lo, s6
	s_wait_xcnt 0x0
	s_and_not1_b32 exec_lo, exec_lo, s6
	s_cbranch_execz .LBB4_38
.LBB4_31:                               ; =>This Inner Loop Header: Depth=1
	v_add_nc_u64_e32 v[4:5], s[2:3], v[2:3]
	s_mov_b32 s8, exec_lo
	s_delay_alu instid0(VALU_DEP_1)
	v_lshl_add_u64 v[8:9], v[4:5], 2, s[16:17]
	global_load_b32 v7, v[8:9], off
	global_load_b32 v10, v2, s[18:19] scale_offset
	s_wait_loadcnt 0x1
	v_mul_f32_e32 v7, v1, v7
	s_wait_loadcnt 0x0
	s_delay_alu instid0(VALU_DEP_1) | instskip(SKIP_2) | instid1(VALU_DEP_1)
	v_mul_f32_e32 v7, v7, v10
	s_wait_dscnt 0x0
	s_wait_xcnt 0x1
	v_div_scale_f32 v8, null, v6, v6, v7
	v_div_scale_f32 v11, vcc_lo, v7, v6, v7
	s_delay_alu instid0(VALU_DEP_2) | instskip(SKIP_1) | instid1(TRANS32_DEP_1)
	v_rcp_f32_e32 v9, v8
	v_nop
	v_fma_f32 v10, -v8, v9, 1.0
	s_delay_alu instid0(VALU_DEP_1) | instskip(NEXT) | instid1(VALU_DEP_1)
	v_fmac_f32_e32 v9, v10, v9
	v_mul_f32_e32 v10, v11, v9
	s_delay_alu instid0(VALU_DEP_1) | instskip(NEXT) | instid1(VALU_DEP_1)
	v_fma_f32 v12, -v8, v10, v11
	v_fmac_f32_e32 v10, v12, v9
	s_delay_alu instid0(VALU_DEP_1) | instskip(NEXT) | instid1(VALU_DEP_1)
	v_fma_f32 v8, -v8, v10, v11
	v_div_fmas_f32 v8, v8, v9, v10
	v_mov_b32_e32 v9, 0x80
	s_delay_alu instid0(VALU_DEP_2) | instskip(NEXT) | instid1(VALU_DEP_1)
	v_div_fixup_f32 v7, v8, v6, v7
	v_minmax_num_f32 v7, v7, s7, 0xc3600000
	s_delay_alu instid0(VALU_DEP_1) | instskip(SKIP_1) | instid1(VALU_DEP_1)
	v_and_b32_e32 v8, 0x7fffffff, v7
	s_wait_xcnt 0x0
	v_cmpx_gt_u32_e32 0x43800000, v8
	s_cbranch_execz .LBB4_30
; %bb.32:                               ;   in Loop: Header=BB4_31 Depth=1
	v_cmp_lt_u32_e32 vcc_lo, 0x3bffffff, v8
	s_mov_b32 s9, 0
                                        ; implicit-def: $vgpr8
	s_and_saveexec_b32 s10, vcc_lo
	s_delay_alu instid0(SALU_CYCLE_1)
	s_xor_b32 s10, exec_lo, s10
	s_cbranch_execnz .LBB4_35
; %bb.33:                               ;   in Loop: Header=BB4_31 Depth=1
	s_and_not1_saveexec_b32 s10, s10
	s_cbranch_execnz .LBB4_36
.LBB4_34:                               ;   in Loop: Header=BB4_31 Depth=1
	s_or_b32 exec_lo, exec_lo, s10
	v_mov_b32_e32 v9, 0
	s_and_saveexec_b32 s10, s9
	s_cbranch_execz .LBB4_29
	s_branch .LBB4_37
.LBB4_35:                               ;   in Loop: Header=BB4_31 Depth=1
	v_bfe_u32 v8, v7, 20, 1
	s_mov_b32 s9, exec_lo
	s_delay_alu instid0(VALU_DEP_1) | instskip(NEXT) | instid1(VALU_DEP_1)
	v_add3_u32 v8, v7, v8, 0x487ffff
	v_lshrrev_b32_e32 v8, 20, v8
	s_and_not1_saveexec_b32 s10, s10
	s_cbranch_execz .LBB4_34
.LBB4_36:                               ;   in Loop: Header=BB4_31 Depth=1
	v_add_f32_e64 v8, 0x46000000, |v7|
	s_and_not1_b32 s9, s9, exec_lo
	s_delay_alu instid0(VALU_DEP_1) | instskip(NEXT) | instid1(VALU_DEP_1)
	v_and_b32_e32 v8, 0xff, v8
	v_cmp_ne_u32_e32 vcc_lo, 0, v8
	s_and_b32 s11, vcc_lo, exec_lo
	s_delay_alu instid0(SALU_CYCLE_1)
	s_or_b32 s9, s9, s11
	s_or_b32 exec_lo, exec_lo, s10
	v_mov_b32_e32 v9, 0
	s_and_saveexec_b32 s10, s9
	s_cbranch_execz .LBB4_29
.LBB4_37:                               ;   in Loop: Header=BB4_31 Depth=1
	v_lshrrev_b32_e32 v7, 24, v7
	s_delay_alu instid0(VALU_DEP_1)
	v_and_or_b32 v9, 0x80, v7, v8
	s_branch .LBB4_29
.LBB4_38:
	s_or_b32 exec_lo, exec_lo, s4
	s_branch .LBB4_211
.LBB4_39:
	s_cbranch_execz .LBB4_211
; %bb.40:
	s_load_b32 s3, s[0:1], 0x38
	s_bfe_u32 s2, ttmp6, 0x4000c
	s_and_b32 s4, ttmp6, 15
	s_add_co_i32 s2, s2, 1
	s_mov_b32 s27, 0
	s_mul_i32 s2, ttmp9, s2
	v_mov_b32_e32 v2, 0
	s_add_co_i32 s4, s4, s2
	s_cmp_eq_u32 s26, 0
	s_wait_xcnt 0x0
	s_add_nc_u64 s[0:1], s[0:1], 56
	s_cselect_b32 s26, ttmp9, s4
	s_ashr_i32 s5, s23, 31
	s_mov_b32 s4, s23
	s_ashr_i32 s28, s23, 2
	s_mul_u64 s[24:25], s[4:5], s[26:27]
	v_cmp_gt_u32_e64 s2, s28, v0
	s_lshl_b64 s[4:5], s[24:25], 2
	s_delay_alu instid0(SALU_CYCLE_1)
	s_add_nc_u64 s[10:11], s[16:17], s[4:5]
	s_and_saveexec_b32 s4, s2
	s_cbranch_execz .LBB4_50
; %bb.41:
	s_wait_kmcnt 0x0
	s_cmp_lt_u32 s26, s3
	s_mov_b32 s7, s27
	s_cselect_b32 s6, 12, 18
	v_dual_mov_b32 v2, 0 :: v_dual_mov_b32 v1, v0
	s_add_nc_u64 s[6:7], s[0:1], s[6:7]
	s_mov_b32 s8, s27
	s_load_u16 s5, s[6:7], 0x0
                                        ; implicit-def: $sgpr16
	s_wait_kmcnt 0x0
	s_lshl_b32 s6, s5, 1
	s_mul_i32 s7, s5, 3
	s_add_co_i32 s9, s5, s5
	s_branch .LBB4_45
.LBB4_42:                               ;   in Loop: Header=BB4_45 Depth=1
	s_or_b32 exec_lo, exec_lo, s30
	s_delay_alu instid0(SALU_CYCLE_1)
	s_or_not1_b32 s30, s31, exec_lo
.LBB4_43:                               ;   in Loop: Header=BB4_45 Depth=1
	s_or_b32 exec_lo, exec_lo, s29
	s_delay_alu instid0(SALU_CYCLE_1) | instskip(SKIP_1) | instid1(SALU_CYCLE_1)
	s_and_not1_b32 s16, s16, exec_lo
	s_and_b32 s29, s30, exec_lo
	s_or_b32 s16, s16, s29
.LBB4_44:                               ;   in Loop: Header=BB4_45 Depth=1
	s_or_b32 exec_lo, exec_lo, s17
	s_delay_alu instid0(SALU_CYCLE_1) | instskip(NEXT) | instid1(SALU_CYCLE_1)
	s_and_b32 s17, exec_lo, s16
	s_or_b32 s8, s17, s8
	s_delay_alu instid0(SALU_CYCLE_1)
	s_and_not1_b32 exec_lo, exec_lo, s8
	s_cbranch_execz .LBB4_49
.LBB4_45:                               ; =>This Inner Loop Header: Depth=1
	global_load_b128 v[4:7], v1, s[10:11] scale_offset
	s_or_b32 s16, s16, exec_lo
	s_mov_b32 s17, exec_lo
	v_add_nc_u32_e32 v3, s5, v1
	s_wait_loadcnt 0x0
	v_pk_mul_f32 v[4:5], v[4:5], v[4:5]
	v_pk_mul_f32 v[6:7], v[6:7], v[6:7]
	s_delay_alu instid0(VALU_DEP_2) | instskip(NEXT) | instid1(VALU_DEP_1)
	v_add_f32_e32 v2, v2, v4
	v_add_f32_e32 v2, v2, v5
	s_delay_alu instid0(VALU_DEP_1) | instskip(NEXT) | instid1(VALU_DEP_1)
	v_add_f32_e32 v2, v2, v6
	v_add_f32_e32 v2, v2, v7
	s_wait_xcnt 0x0
	v_cmpx_gt_u32_e64 s28, v3
	s_cbranch_execz .LBB4_44
; %bb.46:                               ;   in Loop: Header=BB4_45 Depth=1
	global_load_b128 v[4:7], v3, s[10:11] scale_offset
	s_mov_b32 s30, -1
	s_mov_b32 s29, exec_lo
	s_wait_loadcnt 0x0
	v_pk_mul_f32 v[4:5], v[4:5], v[4:5]
	v_pk_mul_f32 v[6:7], v[6:7], v[6:7]
	s_delay_alu instid0(VALU_DEP_2) | instskip(NEXT) | instid1(VALU_DEP_1)
	v_dual_add_f32 v2, v2, v4 :: v_dual_add_nc_u32 v4, s6, v1
	v_add_f32_e32 v2, v2, v5
	s_delay_alu instid0(VALU_DEP_1) | instskip(NEXT) | instid1(VALU_DEP_1)
	v_add_f32_e32 v2, v2, v6
	v_add_f32_e32 v2, v2, v7
	s_wait_xcnt 0x0
	v_cmpx_gt_u32_e64 s28, v4
	s_cbranch_execz .LBB4_43
; %bb.47:                               ;   in Loop: Header=BB4_45 Depth=1
	global_load_b128 v[4:7], v4, s[10:11] scale_offset
	s_mov_b32 s31, -1
	s_mov_b32 s30, exec_lo
	s_wait_loadcnt 0x0
	v_pk_mul_f32 v[4:5], v[4:5], v[4:5]
	v_pk_mul_f32 v[6:7], v[6:7], v[6:7]
	s_delay_alu instid0(VALU_DEP_2) | instskip(NEXT) | instid1(VALU_DEP_1)
	v_dual_add_f32 v2, v2, v4 :: v_dual_add_nc_u32 v4, s7, v1
                                        ; implicit-def: $vgpr1
	v_add_f32_e32 v2, v2, v5
	s_delay_alu instid0(VALU_DEP_1) | instskip(NEXT) | instid1(VALU_DEP_1)
	v_add_f32_e32 v2, v2, v6
	v_add_f32_e32 v2, v2, v7
	s_delay_alu instid0(VALU_DEP_4)
	v_cmpx_gt_u32_e64 s28, v4
	s_xor_b32 s30, exec_lo, s30
	s_cbranch_execz .LBB4_42
; %bb.48:                               ;   in Loop: Header=BB4_45 Depth=1
	global_load_b128 v[4:7], v4, s[10:11] scale_offset
	s_wait_loadcnt 0x0
	v_pk_mul_f32 v[4:5], v[4:5], v[4:5]
	s_delay_alu instid0(VALU_DEP_1) | instskip(NEXT) | instid1(VALU_DEP_1)
	v_add_f32_e32 v1, v2, v4
	v_add_f32_e32 v2, v1, v5
	v_pk_mul_f32 v[4:5], v[6:7], v[6:7]
	v_add3_u32 v1, s9, s5, v3
	s_delay_alu instid0(VALU_DEP_2) | instskip(NEXT) | instid1(VALU_DEP_2)
	v_add_f32_e32 v2, v2, v4
	v_cmp_le_u32_e32 vcc_lo, s28, v1
	s_delay_alu instid0(VALU_DEP_2)
	v_add_f32_e32 v2, v2, v5
	s_or_not1_b32 s31, vcc_lo, exec_lo
	s_branch .LBB4_42
.LBB4_49:
	s_or_b32 exec_lo, exec_lo, s8
.LBB4_50:
	s_delay_alu instid0(SALU_CYCLE_1)
	s_or_b32 exec_lo, exec_lo, s4
	v_mbcnt_lo_u32_b32 v1, -1, 0
	s_wait_kmcnt 0x0
	s_cmp_lt_u32 s26, s3
	s_mov_b32 s5, 0
	s_cselect_b32 s4, 12, 18
	v_and_b32_e32 v5, 0x3c0, v0
	v_cmp_ne_u32_e32 vcc_lo, 63, v1
	s_add_nc_u64 s[0:1], s[0:1], s[4:5]
	v_cmp_eq_u32_e64 s6, 0, v1
	s_load_u16 s16, s[0:1], 0x0
	v_add_nc_u32_e32 v6, 1, v1
	v_add_co_ci_u32_e64 v3, null, 0, v1, vcc_lo
	v_cmp_gt_u32_e32 vcc_lo, 62, v1
	s_delay_alu instid0(VALU_DEP_2)
	v_lshlrev_b32_e32 v3, 2, v3
	v_cndmask_b32_e64 v7, 0, 2, vcc_lo
	v_cmp_gt_u32_e32 vcc_lo, 60, v1
	ds_bpermute_b32 v4, v3, v2
	s_wait_kmcnt 0x0
	v_sub_nc_u32_e64 v8, s16, v5 clamp
	s_delay_alu instid0(VALU_DEP_1)
	v_cmp_lt_u32_e64 s0, v6, v8
	v_cndmask_b32_e64 v6, 0, 4, vcc_lo
	v_cmp_gt_u32_e32 vcc_lo, 56, v1
	s_wait_dscnt 0x0
	v_add_f32_e32 v5, v2, v4
	v_add_lshl_u32 v4, v7, v1, 2
	v_add_nc_u32_e32 v7, 2, v1
	s_delay_alu instid0(VALU_DEP_3) | instskip(NEXT) | instid1(VALU_DEP_2)
	v_cndmask_b32_e64 v2, v2, v5, s0
	v_cmp_lt_u32_e64 s1, v7, v8
	v_cndmask_b32_e64 v7, 0, 8, vcc_lo
	v_cmp_gt_u32_e32 vcc_lo, 48, v1
	ds_bpermute_b32 v5, v4, v2
	s_wait_dscnt 0x0
	v_add_f32_e32 v9, v2, v5
	v_add_lshl_u32 v5, v6, v1, 2
	s_delay_alu instid0(VALU_DEP_2) | instskip(SKIP_4) | instid1(VALU_DEP_2)
	v_cndmask_b32_e64 v2, v2, v9, s1
	ds_bpermute_b32 v6, v5, v2
	s_wait_dscnt 0x0
	v_dual_add_f32 v10, v2, v6 :: v_dual_add_nc_u32 v9, 4, v1
	v_add_lshl_u32 v6, v7, v1, 2
	v_cmp_lt_u32_e64 s3, v9, v8
	v_cndmask_b32_e64 v9, 0, 16, vcc_lo
	s_delay_alu instid0(VALU_DEP_2) | instskip(SKIP_3) | instid1(VALU_DEP_1)
	v_cndmask_b32_e64 v2, v2, v10, s3
	ds_bpermute_b32 v7, v6, v2
	s_wait_dscnt 0x0
	v_dual_add_f32 v11, v2, v7 :: v_dual_add_nc_u32 v10, 8, v1
	v_cmp_lt_u32_e64 s4, v10, v8
	v_add_lshl_u32 v7, v9, v1, 2
	s_delay_alu instid0(VALU_DEP_2) | instskip(NEXT) | instid1(VALU_DEP_1)
	v_dual_add_nc_u32 v10, 16, v1 :: v_dual_cndmask_b32 v9, v2, v11, s4
	v_cmp_lt_u32_e64 s5, v10, v8
	ds_bpermute_b32 v2, v7, v9
	s_wait_dscnt 0x0
	v_dual_add_f32 v11, v9, v2 :: v_dual_lshlrev_b32 v2, 2, v1
	s_delay_alu instid0(VALU_DEP_1) | instskip(SKIP_3) | instid1(VALU_DEP_1)
	v_cndmask_b32_e64 v9, v9, v11, s5
	ds_bpermute_b32 v10, v2, v9 offset:128
	s_wait_dscnt 0x0
	v_dual_add_f32 v10, v9, v10 :: v_dual_bitop2_b32 v11, 32, v1 bitop3:0x54
	v_cmp_lt_u32_e64 s8, v11, v8
	s_delay_alu instid0(VALU_DEP_1)
	v_cndmask_b32_e64 v8, v9, v10, s8
	s_and_saveexec_b32 s7, s6
; %bb.51:
	v_lshrrev_b32_e32 v9, 4, v0
	s_delay_alu instid0(VALU_DEP_1)
	v_and_b32_e32 v9, 60, v9
	ds_store_b32 v9, v8
; %bb.52:
	s_or_b32 exec_lo, exec_lo, s7
	v_cmp_gt_u32_e64 s7, 16, v0
	s_wait_storecnt_dscnt 0x0
	s_barrier_signal -1
	s_barrier_wait -1
	s_and_saveexec_b32 s17, s7
	s_cbranch_execz .LBB4_54
; %bb.53:
	ds_load_b32 v8, v2
	v_and_b32_e32 v9, 15, v1
	s_add_co_i32 s9, s16, 63
	s_delay_alu instid0(SALU_CYCLE_1) | instskip(NEXT) | instid1(VALU_DEP_1)
	s_lshr_b32 s29, s9, 6
	v_cmp_ne_u32_e32 vcc_lo, 15, v9
	v_add_co_ci_u32_e64 v10, null, 0, v1, vcc_lo
	s_delay_alu instid0(VALU_DEP_1)
	v_lshlrev_b32_e32 v10, 2, v10
	v_cmp_gt_u32_e32 vcc_lo, 14, v9
	v_cmp_gt_u32_e64 s9, 12, v9
	v_add_nc_u32_e32 v13, 2, v9
	s_wait_dscnt 0x0
	ds_bpermute_b32 v10, v10, v8
	v_add_nc_u32_e32 v12, 1, v9
	v_cndmask_b32_e64 v11, 0, 2, vcc_lo
	s_delay_alu instid0(VALU_DEP_1)
	v_add_lshl_u32 v11, v11, v1, 2
	s_wait_dscnt 0x0
	v_add_f32_e32 v10, v8, v10
	v_cmp_gt_u32_e32 vcc_lo, s29, v12
	v_cndmask_b32_e64 v12, 0, 4, s9
	v_cmp_gt_u32_e64 s9, s29, v13
	s_delay_alu instid0(VALU_DEP_4) | instskip(NEXT) | instid1(VALU_DEP_3)
	v_cndmask_b32_e32 v10, v8, v10, vcc_lo
	v_add_lshl_u32 v12, v12, v1, 2
	ds_bpermute_b32 v11, v11, v10
	s_wait_dscnt 0x0
	v_add_f32_e32 v11, v10, v11
	s_delay_alu instid0(VALU_DEP_1) | instskip(SKIP_2) | instid1(VALU_DEP_1)
	v_cndmask_b32_e64 v10, v10, v11, s9
	ds_bpermute_b32 v11, v12, v10
	v_dual_add_nc_u32 v12, 4, v9 :: v_dual_add_nc_u32 v9, 8, v9
	v_cmp_gt_u32_e64 s9, s29, v12
	s_wait_dscnt 0x0
	v_add_f32_e32 v11, v10, v11
	s_delay_alu instid0(VALU_DEP_1) | instskip(SKIP_4) | instid1(VALU_DEP_1)
	v_dual_cndmask_b32 v10, v10, v11, s9 :: v_dual_bitop2_b32 v11, 32, v2 bitop3:0x54
	v_cmp_gt_u32_e64 s9, s29, v9
	ds_bpermute_b32 v11, v11, v10
	s_wait_dscnt 0x0
	v_add_f32_e32 v11, v10, v11
	v_cndmask_b32_e64 v9, v10, v11, s9
	s_delay_alu instid0(VALU_DEP_1)
	v_cndmask_b32_e32 v8, v8, v9, vcc_lo
.LBB4_54:
	s_or_b32 exec_lo, exec_lo, s17
	v_cmp_eq_u32_e64 s9, 0, v0
	s_and_saveexec_b32 s17, s9
	s_cbranch_execz .LBB4_56
; %bb.55:
	s_cvt_f32_i32 s23, s23
	s_delay_alu instid0(SALU_CYCLE_3) | instskip(SKIP_1) | instid1(VALU_DEP_2)
	v_div_scale_f32 v9, null, s23, s23, v8
	v_div_scale_f32 v12, vcc_lo, v8, s23, v8
	v_rcp_f32_e32 v10, v9
	v_nop
	s_delay_alu instid0(TRANS32_DEP_1) | instskip(NEXT) | instid1(VALU_DEP_1)
	v_fma_f32 v11, -v9, v10, 1.0
	v_fmac_f32_e32 v10, v11, v10
	s_delay_alu instid0(VALU_DEP_1) | instskip(NEXT) | instid1(VALU_DEP_1)
	v_mul_f32_e32 v11, v12, v10
	v_fma_f32 v13, -v9, v11, v12
	s_delay_alu instid0(VALU_DEP_1) | instskip(NEXT) | instid1(VALU_DEP_1)
	v_fmac_f32_e32 v11, v13, v10
	v_fma_f32 v9, -v9, v11, v12
	s_delay_alu instid0(VALU_DEP_1) | instskip(NEXT) | instid1(VALU_DEP_1)
	v_div_fmas_f32 v9, v9, v10, v11
	v_div_fixup_f32 v8, v9, s23, v8
	s_delay_alu instid0(VALU_DEP_1) | instskip(NEXT) | instid1(VALU_DEP_1)
	v_add_f32_e32 v8, s22, v8
	v_mul_f32_e32 v9, 0x4b800000, v8
	v_cmp_gt_f32_e32 vcc_lo, 0x800000, v8
	s_delay_alu instid0(VALU_DEP_2) | instskip(NEXT) | instid1(VALU_DEP_1)
	v_cndmask_b32_e32 v8, v8, v9, vcc_lo
	v_rsq_f32_e32 v8, v8
	v_nop
	s_delay_alu instid0(TRANS32_DEP_1) | instskip(NEXT) | instid1(VALU_DEP_1)
	v_mul_f32_e32 v9, 0x45800000, v8
	v_dual_cndmask_b32 v8, v8, v9 :: v_dual_mov_b32 v9, 0
	ds_store_b32 v9, v8 offset:256
.LBB4_56:
	s_or_b32 exec_lo, exec_lo, s17
	v_mov_b32_e32 v8, 0
	s_wait_dscnt 0x0
	s_barrier_signal -1
	s_barrier_wait -1
	ds_load_b32 v14, v8 offset:256
	s_and_saveexec_b32 s17, s2
	s_cbranch_execz .LBB4_66
; %bb.57:
	v_dual_mov_b32 v8, 0 :: v_dual_mov_b32 v9, v0
	s_lshl_b32 s22, s16, 1
	s_mul_i32 s29, s16, 3
	s_mov_b32 s23, 0
	s_add_co_i32 s30, s16, s16
                                        ; implicit-def: $sgpr31
	s_branch .LBB4_61
.LBB4_58:                               ;   in Loop: Header=BB4_61 Depth=1
	s_or_b32 exec_lo, exec_lo, s35
	s_delay_alu instid0(SALU_CYCLE_1)
	s_or_not1_b32 s35, s36, exec_lo
.LBB4_59:                               ;   in Loop: Header=BB4_61 Depth=1
	s_or_b32 exec_lo, exec_lo, s34
	s_delay_alu instid0(SALU_CYCLE_1) | instskip(SKIP_1) | instid1(SALU_CYCLE_1)
	s_and_not1_b32 s31, s31, exec_lo
	s_and_b32 s34, s35, exec_lo
	s_or_b32 s31, s31, s34
.LBB4_60:                               ;   in Loop: Header=BB4_61 Depth=1
	s_or_b32 exec_lo, exec_lo, s33
	s_delay_alu instid0(SALU_CYCLE_1) | instskip(NEXT) | instid1(SALU_CYCLE_1)
	s_and_b32 s33, exec_lo, s31
	s_or_b32 s23, s33, s23
	s_delay_alu instid0(SALU_CYCLE_1)
	s_and_not1_b32 exec_lo, exec_lo, s23
	s_cbranch_execz .LBB4_65
.LBB4_61:                               ; =>This Inner Loop Header: Depth=1
	s_clause 0x1
	global_load_b128 v[10:13], v9, s[10:11] scale_offset
	global_load_b128 v[16:19], v9, s[18:19] scale_offset
	s_or_b32 s31, s31, exec_lo
	s_mov_b32 s33, exec_lo
	s_wait_loadcnt_dscnt 0x100
	v_dual_mul_f32 v10, v14, v10 :: v_dual_mul_f32 v11, v14, v11
	v_dual_mul_f32 v12, v14, v12 :: v_dual_mul_f32 v13, v14, v13
	s_wait_loadcnt 0x0
	s_delay_alu instid0(VALU_DEP_2) | instskip(NEXT) | instid1(VALU_DEP_2)
	v_dual_mul_f32 v10, v10, v16 :: v_dual_mul_f32 v11, v11, v17
	v_dual_mul_f32 v12, v12, v18 :: v_dual_mul_f32 v13, v13, v19
	s_delay_alu instid0(VALU_DEP_2) | instskip(SKIP_1) | instid1(VALU_DEP_2)
	v_max3_num_f32 v8, v8, |v10|, |v11|
	v_add_nc_u32_e32 v10, s16, v9
	v_max3_num_f32 v8, v8, |v12|, |v13|
	s_delay_alu instid0(VALU_DEP_2)
	v_cmpx_gt_u32_e64 s28, v10
	s_cbranch_execz .LBB4_60
; %bb.62:                               ;   in Loop: Header=BB4_61 Depth=1
	s_clause 0x1
	global_load_b128 v[16:19], v10, s[10:11] scale_offset
	global_load_b128 v[20:23], v10, s[18:19] scale_offset
	s_mov_b32 s35, -1
	s_mov_b32 s34, exec_lo
	s_wait_loadcnt 0x1
	v_dual_mul_f32 v11, v14, v16 :: v_dual_mul_f32 v12, v14, v17
	v_dual_mul_f32 v13, v14, v18 :: v_dual_mul_f32 v15, v14, v19
	s_wait_loadcnt 0x0
	s_delay_alu instid0(VALU_DEP_2) | instskip(NEXT) | instid1(VALU_DEP_2)
	v_dual_mul_f32 v11, v11, v20 :: v_dual_mul_f32 v12, v12, v21
	v_dual_mul_f32 v13, v13, v22 :: v_dual_mul_f32 v15, v15, v23
	s_delay_alu instid0(VALU_DEP_2) | instskip(SKIP_1) | instid1(VALU_DEP_2)
	v_max3_num_f32 v8, v8, |v11|, |v12|
	v_add_nc_u32_e32 v11, s22, v9
	v_max3_num_f32 v8, v8, |v13|, |v15|
	s_delay_alu instid0(VALU_DEP_2)
	v_cmpx_gt_u32_e64 s28, v11
	s_cbranch_execz .LBB4_59
; %bb.63:                               ;   in Loop: Header=BB4_61 Depth=1
	s_clause 0x1
	global_load_b128 v[16:19], v11, s[10:11] scale_offset
	global_load_b128 v[20:23], v11, s[18:19] scale_offset
	s_mov_b32 s36, -1
	s_mov_b32 s35, exec_lo
	s_wait_loadcnt 0x1
	s_wait_xcnt 0x0
	v_dual_mul_f32 v11, v14, v16 :: v_dual_mul_f32 v12, v14, v17
	v_dual_mul_f32 v13, v14, v18 :: v_dual_mul_f32 v15, v14, v19
	s_wait_loadcnt 0x0
	s_delay_alu instid0(VALU_DEP_2) | instskip(NEXT) | instid1(VALU_DEP_2)
	v_dual_mul_f32 v11, v11, v20 :: v_dual_mul_f32 v12, v12, v21
	v_dual_mul_f32 v13, v13, v22 :: v_dual_mul_f32 v15, v15, v23
	s_delay_alu instid0(VALU_DEP_2) | instskip(SKIP_1) | instid1(VALU_DEP_2)
	v_max3_num_f32 v8, v8, |v11|, |v12|
	v_add_nc_u32_e32 v11, s29, v9
                                        ; implicit-def: $vgpr9
	v_max3_num_f32 v8, v8, |v13|, |v15|
	s_delay_alu instid0(VALU_DEP_2)
	v_cmpx_gt_u32_e64 s28, v11
	s_xor_b32 s35, exec_lo, s35
	s_cbranch_execz .LBB4_58
; %bb.64:                               ;   in Loop: Header=BB4_61 Depth=1
	s_clause 0x1
	global_load_b128 v[16:19], v11, s[10:11] scale_offset
	global_load_b128 v[20:23], v11, s[18:19] scale_offset
	s_wait_loadcnt 0x1
	s_wait_xcnt 0x0
	v_dual_mul_f32 v9, v14, v16 :: v_dual_mul_f32 v11, v14, v17
	v_dual_mul_f32 v12, v14, v18 :: v_dual_mul_f32 v15, v14, v19
	s_wait_loadcnt 0x0
	s_delay_alu instid0(VALU_DEP_2) | instskip(SKIP_1) | instid1(VALU_DEP_3)
	v_dual_mul_f32 v13, v9, v20 :: v_dual_mul_f32 v11, v11, v21
	v_add3_u32 v9, s30, s16, v10
	v_mul_f32_e32 v10, v12, v22
	s_delay_alu instid0(VALU_DEP_3) | instskip(SKIP_1) | instid1(VALU_DEP_4)
	v_max3_num_f32 v8, v8, |v13|, |v11|
	v_mul_f32_e32 v11, v15, v23
	v_cmp_le_u32_e32 vcc_lo, s28, v9
	s_delay_alu instid0(VALU_DEP_2)
	v_max3_num_f32 v8, v8, |v10|, |v11|
	s_or_not1_b32 s36, vcc_lo, exec_lo
	s_branch .LBB4_58
.LBB4_65:
	s_or_b32 exec_lo, exec_lo, s23
.LBB4_66:
	s_delay_alu instid0(SALU_CYCLE_1)
	s_or_b32 exec_lo, exec_lo, s17
	ds_bpermute_b32 v3, v3, v8
	v_or_b32_e32 v9, 0x80, v2
	s_wait_dscnt 0x0
	v_cmp_lt_f32_e32 vcc_lo, v8, v3
	v_cndmask_b32_e32 v3, v8, v3, vcc_lo
	s_delay_alu instid0(VALU_DEP_1) | instskip(SKIP_1) | instid1(SALU_CYCLE_1)
	v_cndmask_b32_e64 v3, v8, v3, s0
	s_or_b32 s0, s0, s1
	s_or_b32 s0, s3, s0
	s_delay_alu instid0(SALU_CYCLE_1)
	s_or_b32 s0, s4, s0
	ds_bpermute_b32 v4, v4, v3
	s_or_b32 s0, s5, s0
	s_wait_dscnt 0x0
	v_cmp_lt_f32_e32 vcc_lo, v3, v4
	v_cndmask_b32_e32 v4, v3, v4, vcc_lo
	s_delay_alu instid0(VALU_DEP_1) | instskip(SKIP_4) | instid1(VALU_DEP_1)
	v_cndmask_b32_e64 v3, v3, v4, s1
	ds_bpermute_b32 v4, v5, v3
	s_wait_dscnt 0x0
	v_cmp_lt_f32_e32 vcc_lo, v3, v4
	v_cndmask_b32_e32 v4, v3, v4, vcc_lo
	v_cndmask_b32_e64 v3, v3, v4, s3
	ds_bpermute_b32 v4, v6, v3
	s_wait_dscnt 0x0
	v_cmp_lt_f32_e32 vcc_lo, v3, v4
	v_cndmask_b32_e32 v4, v3, v4, vcc_lo
	s_delay_alu instid0(VALU_DEP_1) | instskip(SKIP_4) | instid1(VALU_DEP_1)
	v_cndmask_b32_e64 v3, v3, v4, s4
	ds_bpermute_b32 v4, v7, v3
	s_wait_dscnt 0x0
	v_cmp_lt_f32_e32 vcc_lo, v3, v4
	v_cndmask_b32_e32 v4, v3, v4, vcc_lo
	v_cndmask_b32_e64 v3, v3, v4, s5
	ds_bpermute_b32 v4, v9, v3
	s_wait_dscnt 0x0
	v_cmp_lt_f32_e32 vcc_lo, v3, v4
	s_and_b32 vcc_lo, s8, vcc_lo
	v_cndmask_b32_e32 v3, v3, v4, vcc_lo
	s_or_b32 vcc_lo, s8, s0
	s_delay_alu instid0(VALU_DEP_1)
	v_cndmask_b32_e32 v3, v8, v3, vcc_lo
	s_and_saveexec_b32 s0, s6
; %bb.67:
	v_lshrrev_b32_e32 v4, 4, v0
	s_delay_alu instid0(VALU_DEP_1)
	v_and_b32_e32 v4, 60, v4
	ds_store_b32 v4, v3 offset:64
; %bb.68:
	s_or_b32 exec_lo, exec_lo, s0
	s_wait_dscnt 0x0
	s_barrier_signal -1
	s_barrier_wait -1
	s_and_saveexec_b32 s3, s7
	s_cbranch_execz .LBB4_70
; %bb.69:
	ds_load_b32 v3, v2 offset:64
	v_and_b32_e32 v4, 15, v1
	s_add_co_i32 s0, s16, 63
	v_or_b32_e32 v2, 32, v2
	s_lshr_b32 s1, s0, 6
	s_delay_alu instid0(VALU_DEP_2) | instskip(SKIP_4) | instid1(VALU_DEP_3)
	v_cmp_ne_u32_e32 vcc_lo, 15, v4
	v_add_nc_u32_e32 v6, 1, v4
	v_cmp_gt_u32_e64 s0, 12, v4
	v_add_co_ci_u32_e64 v5, null, 0, v1, vcc_lo
	v_cmp_gt_u32_e32 vcc_lo, 14, v4
	v_cndmask_b32_e64 v8, 0, 4, s0
	s_delay_alu instid0(VALU_DEP_3)
	v_lshlrev_b32_e32 v5, 2, v5
	v_cndmask_b32_e64 v7, 0, 2, vcc_lo
	s_wait_dscnt 0x0
	ds_bpermute_b32 v5, v5, v3
	v_add_lshl_u32 v7, v7, v1, 2
	v_add_lshl_u32 v1, v8, v1, 2
	s_wait_dscnt 0x0
	v_cmp_lt_f32_e32 vcc_lo, v3, v5
	v_cndmask_b32_e32 v5, v3, v5, vcc_lo
	v_cmp_gt_u32_e32 vcc_lo, s1, v6
	s_delay_alu instid0(VALU_DEP_2) | instskip(SKIP_3) | instid1(VALU_DEP_1)
	v_cndmask_b32_e32 v5, v3, v5, vcc_lo
	ds_bpermute_b32 v6, v7, v5
	s_wait_dscnt 0x0
	v_cmp_lt_f32_e64 s0, v5, v6
	v_dual_cndmask_b32 v6, v5, v6, s0 :: v_dual_add_nc_u32 v7, 2, v4
	s_delay_alu instid0(VALU_DEP_1) | instskip(NEXT) | instid1(VALU_DEP_1)
	v_cmp_gt_u32_e64 s0, s1, v7
	v_dual_cndmask_b32 v5, v5, v6, s0 :: v_dual_add_nc_u32 v6, 4, v4
	v_add_nc_u32_e32 v4, 8, v4
	ds_bpermute_b32 v1, v1, v5
	s_wait_dscnt 0x0
	v_cmp_lt_f32_e64 s0, v5, v1
	s_delay_alu instid0(VALU_DEP_1) | instskip(SKIP_1) | instid1(VALU_DEP_1)
	v_cndmask_b32_e64 v1, v5, v1, s0
	v_cmp_gt_u32_e64 s0, s1, v6
	v_cndmask_b32_e64 v1, v5, v1, s0
	v_cmp_gt_u32_e64 s0, s1, v4
	ds_bpermute_b32 v2, v2, v1
	s_wait_dscnt 0x0
	v_cmp_lt_f32_e64 s1, v1, v2
	s_and_b32 s0, s0, s1
	s_delay_alu instid0(SALU_CYCLE_1) | instskip(NEXT) | instid1(VALU_DEP_1)
	v_cndmask_b32_e64 v1, v1, v2, s0
	v_cndmask_b32_e32 v3, v3, v1, vcc_lo
.LBB4_70:
	s_or_b32 exec_lo, exec_lo, s3
	s_and_saveexec_b32 s0, s9
	s_cbranch_execz .LBB4_74
; %bb.71:
	s_cmp_eq_u64 s[20:21], 0
	s_cbranch_scc1 .LBB4_73
; %bb.72:
	v_dual_mov_b32 v1, 0 :: v_dual_max_num_f32 v2, v3, v3
	global_load_b32 v1, v1, s[20:21]
	s_wait_loadcnt 0x0
	v_max_num_f32_e32 v1, v1, v1
	s_delay_alu instid0(VALU_DEP_1)
	v_min_num_f32_e32 v3, v2, v1
.LBB4_73:
	s_delay_alu instid0(VALU_DEP_1)
	v_div_scale_f32 v1, null, 0x43600000, 0x43600000, v3
	v_div_scale_f32 v5, vcc_lo, v3, 0x43600000, v3
	s_lshl_b64 s[4:5], s[26:27], 2
	v_rcp_f32_e32 v2, v1
	s_add_nc_u64 s[4:5], s[14:15], s[4:5]
	v_nop
	s_delay_alu instid0(TRANS32_DEP_1) | instskip(NEXT) | instid1(VALU_DEP_1)
	v_fma_f32 v4, -v1, v2, 1.0
	v_fmac_f32_e32 v2, v4, v2
	s_delay_alu instid0(VALU_DEP_1) | instskip(NEXT) | instid1(VALU_DEP_1)
	v_mul_f32_e32 v4, v5, v2
	v_fma_f32 v6, -v1, v4, v5
	s_delay_alu instid0(VALU_DEP_1) | instskip(NEXT) | instid1(VALU_DEP_1)
	v_fmac_f32_e32 v4, v6, v2
	v_fma_f32 v1, -v1, v4, v5
	s_delay_alu instid0(VALU_DEP_1) | instskip(SKIP_1) | instid1(VALU_DEP_2)
	v_div_fmas_f32 v1, v1, v2, v4
	v_mov_b32_e32 v2, 0
	v_div_fixup_f32 v1, v1, 0x43600000, v3
	s_delay_alu instid0(VALU_DEP_1)
	v_max_num_f32_e32 v1, 0x37124925, v1
	ds_store_b32 v2, v1 offset:260
	global_store_b32 v2, v1, s[4:5]
.LBB4_74:
	s_wait_xcnt 0x0
	s_or_b32 exec_lo, exec_lo, s0
	s_wait_storecnt_dscnt 0x0
	s_barrier_signal -1
	s_barrier_wait -1
	s_and_saveexec_b32 s0, s2
	s_cbranch_execz .LBB4_211
; %bb.75:
	v_mov_b32_e32 v1, 0
	s_add_nc_u64 s[0:1], s[12:13], s[24:25]
	s_lshl_b32 s2, s16, 1
	s_mul_i32 s3, s16, 3
	s_mov_b32 s4, 0
	ds_load_b32 v15, v1 offset:260
	s_mov_b32 s5, 0x43600000
	s_add_co_i32 s6, s16, s16
	s_branch .LBB4_81
.LBB4_76:                               ;   in Loop: Header=BB4_81 Depth=1
	s_or_b32 exec_lo, exec_lo, s14
.LBB4_77:                               ;   in Loop: Header=BB4_81 Depth=1
	s_delay_alu instid0(SALU_CYCLE_1) | instskip(SKIP_3) | instid1(VALU_DEP_2)
	s_or_b32 exec_lo, exec_lo, s12
	v_lshl_add_u64 v[8:9], v[0:1], 2, s[0:1]
	v_add3_u32 v0, s6, s16, v10
	v_or_b32_e32 v2, v3, v2
	v_cmp_le_u32_e32 vcc_lo, s28, v0
	s_delay_alu instid0(VALU_DEP_2)
	v_or3_b32 v2, v2, v4, v7
	s_or_not1_b32 s12, vcc_lo, exec_lo
	global_store_b32 v[8:9], v2, off
.LBB4_78:                               ;   in Loop: Header=BB4_81 Depth=1
	s_wait_xcnt 0x0
	s_or_b32 exec_lo, exec_lo, s9
	s_delay_alu instid0(SALU_CYCLE_1)
	s_or_not1_b32 s9, s12, exec_lo
.LBB4_79:                               ;   in Loop: Header=BB4_81 Depth=1
	s_or_b32 exec_lo, exec_lo, s8
	s_delay_alu instid0(SALU_CYCLE_1)
	s_or_not1_b32 s8, s9, exec_lo
.LBB4_80:                               ;   in Loop: Header=BB4_81 Depth=1
	s_or_b32 exec_lo, exec_lo, s7
	s_delay_alu instid0(SALU_CYCLE_1) | instskip(NEXT) | instid1(SALU_CYCLE_1)
	s_and_b32 s7, exec_lo, s8
	s_or_b32 s4, s7, s4
	s_delay_alu instid0(SALU_CYCLE_1)
	s_and_not1_b32 exec_lo, exec_lo, s4
	s_cbranch_execz .LBB4_211
.LBB4_81:                               ; =>This Inner Loop Header: Depth=1
	s_clause 0x1
	global_load_b128 v[2:5], v0, s[10:11] scale_offset
	global_load_b128 v[6:9], v0, s[18:19] scale_offset
	s_mov_b32 s7, exec_lo
	s_wait_loadcnt 0x1
	v_mul_f32_e32 v2, v14, v2
	s_wait_loadcnt 0x0
	s_delay_alu instid0(VALU_DEP_1) | instskip(SKIP_1) | instid1(VALU_DEP_1)
	v_mul_f32_e32 v2, v2, v6
	s_wait_dscnt 0x0
	v_div_scale_f32 v6, null, v15, v15, v2
	v_div_scale_f32 v12, vcc_lo, v2, v15, v2
	s_delay_alu instid0(VALU_DEP_2) | instskip(SKIP_1) | instid1(TRANS32_DEP_1)
	v_rcp_f32_e32 v10, v6
	v_nop
	v_fma_f32 v11, -v6, v10, 1.0
	s_delay_alu instid0(VALU_DEP_1) | instskip(NEXT) | instid1(VALU_DEP_1)
	v_fmac_f32_e32 v10, v11, v10
	v_mul_f32_e32 v11, v12, v10
	s_delay_alu instid0(VALU_DEP_1) | instskip(NEXT) | instid1(VALU_DEP_1)
	v_fma_f32 v13, -v6, v11, v12
	v_fmac_f32_e32 v11, v13, v10
	s_delay_alu instid0(VALU_DEP_1) | instskip(NEXT) | instid1(VALU_DEP_1)
	v_fma_f32 v6, -v6, v11, v12
	v_div_fmas_f32 v6, v6, v10, v11
	s_delay_alu instid0(VALU_DEP_1) | instskip(NEXT) | instid1(VALU_DEP_1)
	v_div_fixup_f32 v2, v6, v15, v2
	v_minmax_num_f32 v6, v2, s5, 0xc3600000
	v_mov_b32_e32 v2, 0x80
	s_delay_alu instid0(VALU_DEP_2) | instskip(SKIP_1) | instid1(VALU_DEP_1)
	v_and_b32_e32 v10, 0x7fffffff, v6
	s_wait_xcnt 0x0
	v_cmpx_gt_u32_e32 0x43800000, v10
	s_cbranch_execz .LBB4_87
; %bb.82:                               ;   in Loop: Header=BB4_81 Depth=1
	v_cmp_lt_u32_e32 vcc_lo, 0x3bffffff, v10
	s_mov_b32 s8, 0
                                        ; implicit-def: $vgpr10
	s_and_saveexec_b32 s9, vcc_lo
	s_delay_alu instid0(SALU_CYCLE_1)
	s_xor_b32 s9, exec_lo, s9
	s_cbranch_execnz .LBB4_178
; %bb.83:                               ;   in Loop: Header=BB4_81 Depth=1
	s_and_not1_saveexec_b32 s9, s9
	s_cbranch_execnz .LBB4_179
.LBB4_84:                               ;   in Loop: Header=BB4_81 Depth=1
	s_or_b32 exec_lo, exec_lo, s9
	v_mov_b32_e32 v2, 0
	s_and_saveexec_b32 s9, s8
.LBB4_85:                               ;   in Loop: Header=BB4_81 Depth=1
	v_lshrrev_b32_e32 v2, 24, v6
	s_delay_alu instid0(VALU_DEP_1)
	v_and_or_b32 v2, 0x80, v2, v10
.LBB4_86:                               ;   in Loop: Header=BB4_81 Depth=1
	s_or_b32 exec_lo, exec_lo, s9
.LBB4_87:                               ;   in Loop: Header=BB4_81 Depth=1
	s_delay_alu instid0(SALU_CYCLE_1) | instskip(SKIP_2) | instid1(VALU_DEP_1)
	s_or_b32 exec_lo, exec_lo, s7
	v_mul_f32_e32 v3, v14, v3
	s_mov_b32 s7, exec_lo
	v_mul_f32_e32 v3, v3, v7
	s_delay_alu instid0(VALU_DEP_1) | instskip(NEXT) | instid1(VALU_DEP_1)
	v_div_scale_f32 v6, null, v15, v15, v3
	v_rcp_f32_e32 v7, v6
	v_nop
	s_delay_alu instid0(TRANS32_DEP_1) | instskip(NEXT) | instid1(VALU_DEP_1)
	v_fma_f32 v10, -v6, v7, 1.0
	v_fmac_f32_e32 v7, v10, v7
	v_div_scale_f32 v11, vcc_lo, v3, v15, v3
	s_delay_alu instid0(VALU_DEP_1) | instskip(NEXT) | instid1(VALU_DEP_1)
	v_mul_f32_e32 v10, v11, v7
	v_fma_f32 v12, -v6, v10, v11
	s_delay_alu instid0(VALU_DEP_1) | instskip(NEXT) | instid1(VALU_DEP_1)
	v_fmac_f32_e32 v10, v12, v7
	v_fma_f32 v6, -v6, v10, v11
	s_delay_alu instid0(VALU_DEP_1) | instskip(NEXT) | instid1(VALU_DEP_1)
	v_div_fmas_f32 v6, v6, v7, v10
	v_div_fixup_f32 v3, v6, v15, v3
	s_delay_alu instid0(VALU_DEP_1) | instskip(SKIP_1) | instid1(VALU_DEP_2)
	v_minmax_num_f32 v6, v3, s5, 0xc3600000
	v_mov_b32_e32 v3, 0x8000
	v_and_b32_e32 v7, 0x7fffffff, v6
	s_delay_alu instid0(VALU_DEP_1)
	v_cmpx_gt_u32_e32 0x43800000, v7
	s_cbranch_execz .LBB4_93
; %bb.88:                               ;   in Loop: Header=BB4_81 Depth=1
	v_cmp_lt_u32_e32 vcc_lo, 0x3bffffff, v7
	s_mov_b32 s8, 0
                                        ; implicit-def: $vgpr7
	s_and_saveexec_b32 s9, vcc_lo
	s_delay_alu instid0(SALU_CYCLE_1)
	s_xor_b32 s9, exec_lo, s9
	s_cbranch_execnz .LBB4_180
; %bb.89:                               ;   in Loop: Header=BB4_81 Depth=1
	s_and_not1_saveexec_b32 s9, s9
	s_cbranch_execnz .LBB4_181
.LBB4_90:                               ;   in Loop: Header=BB4_81 Depth=1
	s_or_b32 exec_lo, exec_lo, s9
	v_mov_b32_e32 v3, 0
	s_and_saveexec_b32 s9, s8
.LBB4_91:                               ;   in Loop: Header=BB4_81 Depth=1
	v_lshrrev_b32_e32 v3, 24, v6
	s_delay_alu instid0(VALU_DEP_1) | instskip(NEXT) | instid1(VALU_DEP_1)
	v_and_or_b32 v3, 0x80, v3, v7
	v_lshlrev_b32_e32 v3, 8, v3
.LBB4_92:                               ;   in Loop: Header=BB4_81 Depth=1
	s_or_b32 exec_lo, exec_lo, s9
.LBB4_93:                               ;   in Loop: Header=BB4_81 Depth=1
	s_delay_alu instid0(SALU_CYCLE_1) | instskip(SKIP_2) | instid1(VALU_DEP_1)
	s_or_b32 exec_lo, exec_lo, s7
	v_mul_f32_e32 v4, v14, v4
	s_mov_b32 s7, exec_lo
	v_mul_f32_e32 v4, v4, v8
	s_delay_alu instid0(VALU_DEP_1) | instskip(SKIP_1) | instid1(VALU_DEP_2)
	v_div_scale_f32 v6, null, v15, v15, v4
	v_div_scale_f32 v10, vcc_lo, v4, v15, v4
	v_rcp_f32_e32 v7, v6
	v_nop
	s_delay_alu instid0(TRANS32_DEP_1) | instskip(NEXT) | instid1(VALU_DEP_1)
	v_fma_f32 v8, -v6, v7, 1.0
	v_fmac_f32_e32 v7, v8, v7
	s_delay_alu instid0(VALU_DEP_1) | instskip(NEXT) | instid1(VALU_DEP_1)
	v_mul_f32_e32 v8, v10, v7
	v_fma_f32 v11, -v6, v8, v10
	s_delay_alu instid0(VALU_DEP_1) | instskip(NEXT) | instid1(VALU_DEP_1)
	v_fmac_f32_e32 v8, v11, v7
	v_fma_f32 v6, -v6, v8, v10
	s_delay_alu instid0(VALU_DEP_1) | instskip(NEXT) | instid1(VALU_DEP_1)
	v_div_fmas_f32 v6, v6, v7, v8
	v_div_fixup_f32 v4, v6, v15, v4
	s_delay_alu instid0(VALU_DEP_1) | instskip(SKIP_1) | instid1(VALU_DEP_2)
	v_minmax_num_f32 v6, v4, s5, 0xc3600000
	v_mov_b32_e32 v4, 0x800000
	v_and_b32_e32 v7, 0x7fffffff, v6
	s_delay_alu instid0(VALU_DEP_1)
	v_cmpx_gt_u32_e32 0x43800000, v7
	s_cbranch_execz .LBB4_99
; %bb.94:                               ;   in Loop: Header=BB4_81 Depth=1
	v_cmp_lt_u32_e32 vcc_lo, 0x3bffffff, v7
	s_mov_b32 s8, 0
                                        ; implicit-def: $vgpr7
	s_and_saveexec_b32 s9, vcc_lo
	s_delay_alu instid0(SALU_CYCLE_1)
	s_xor_b32 s9, exec_lo, s9
	s_cbranch_execnz .LBB4_182
; %bb.95:                               ;   in Loop: Header=BB4_81 Depth=1
	s_and_not1_saveexec_b32 s9, s9
	s_cbranch_execnz .LBB4_183
.LBB4_96:                               ;   in Loop: Header=BB4_81 Depth=1
	s_or_b32 exec_lo, exec_lo, s9
	v_mov_b32_e32 v4, 0
	s_and_saveexec_b32 s9, s8
.LBB4_97:                               ;   in Loop: Header=BB4_81 Depth=1
	v_lshrrev_b32_e32 v4, 24, v6
	s_delay_alu instid0(VALU_DEP_1) | instskip(NEXT) | instid1(VALU_DEP_1)
	v_and_or_b32 v4, 0x80, v4, v7
	v_lshlrev_b32_e32 v4, 16, v4
.LBB4_98:                               ;   in Loop: Header=BB4_81 Depth=1
	s_or_b32 exec_lo, exec_lo, s9
.LBB4_99:                               ;   in Loop: Header=BB4_81 Depth=1
	s_delay_alu instid0(SALU_CYCLE_1) | instskip(SKIP_2) | instid1(VALU_DEP_1)
	s_or_b32 exec_lo, exec_lo, s7
	v_mul_f32_e32 v5, v14, v5
	s_mov_b32 s7, exec_lo
	v_mul_f32_e32 v5, v5, v9
	s_delay_alu instid0(VALU_DEP_1) | instskip(SKIP_1) | instid1(VALU_DEP_2)
	v_div_scale_f32 v6, null, v15, v15, v5
	v_div_scale_f32 v9, vcc_lo, v5, v15, v5
	v_rcp_f32_e32 v7, v6
	v_nop
	s_delay_alu instid0(TRANS32_DEP_1) | instskip(NEXT) | instid1(VALU_DEP_1)
	v_fma_f32 v8, -v6, v7, 1.0
	v_fmac_f32_e32 v7, v8, v7
	s_delay_alu instid0(VALU_DEP_1) | instskip(NEXT) | instid1(VALU_DEP_1)
	v_mul_f32_e32 v8, v9, v7
	v_fma_f32 v10, -v6, v8, v9
	s_delay_alu instid0(VALU_DEP_1) | instskip(NEXT) | instid1(VALU_DEP_1)
	v_fmac_f32_e32 v8, v10, v7
	v_fma_f32 v6, -v6, v8, v9
	s_delay_alu instid0(VALU_DEP_1) | instskip(SKIP_1) | instid1(VALU_DEP_2)
	v_div_fmas_f32 v6, v6, v7, v8
	v_bfrev_b32_e32 v7, 1
	v_div_fixup_f32 v5, v6, v15, v5
	s_delay_alu instid0(VALU_DEP_1) | instskip(NEXT) | instid1(VALU_DEP_1)
	v_minmax_num_f32 v5, v5, s5, 0xc3600000
	v_and_b32_e32 v6, 0x7fffffff, v5
	s_delay_alu instid0(VALU_DEP_1)
	v_cmpx_gt_u32_e32 0x43800000, v6
	s_cbranch_execz .LBB4_105
; %bb.100:                              ;   in Loop: Header=BB4_81 Depth=1
	v_cmp_lt_u32_e32 vcc_lo, 0x3bffffff, v6
	s_mov_b32 s8, 0
                                        ; implicit-def: $vgpr6
	s_and_saveexec_b32 s9, vcc_lo
	s_delay_alu instid0(SALU_CYCLE_1)
	s_xor_b32 s9, exec_lo, s9
	s_cbranch_execnz .LBB4_184
; %bb.101:                              ;   in Loop: Header=BB4_81 Depth=1
	s_and_not1_saveexec_b32 s9, s9
	s_cbranch_execnz .LBB4_185
.LBB4_102:                              ;   in Loop: Header=BB4_81 Depth=1
	s_or_b32 exec_lo, exec_lo, s9
	v_mov_b32_e32 v7, 0
	s_and_saveexec_b32 s9, s8
.LBB4_103:                              ;   in Loop: Header=BB4_81 Depth=1
	v_and_b32_e32 v5, 0x80000000, v5
	s_delay_alu instid0(VALU_DEP_1)
	v_lshl_or_b32 v7, v6, 24, v5
.LBB4_104:                              ;   in Loop: Header=BB4_81 Depth=1
	s_or_b32 exec_lo, exec_lo, s9
.LBB4_105:                              ;   in Loop: Header=BB4_81 Depth=1
	s_delay_alu instid0(SALU_CYCLE_1) | instskip(SKIP_4) | instid1(VALU_DEP_2)
	s_or_b32 exec_lo, exec_lo, s7
	v_dual_add_nc_u32 v10, s16, v0 :: v_dual_bitop2_b32 v5, v3, v2 bitop3:0x54
	v_lshl_add_u64 v[2:3], v[0:1], 2, s[0:1]
	s_mov_b32 s8, -1
	s_mov_b32 s7, exec_lo
	v_or3_b32 v4, v5, v4, v7
	global_store_b32 v[2:3], v4, off
	s_wait_xcnt 0x0
	v_cmpx_gt_u32_e64 s28, v10
	s_cbranch_execz .LBB4_80
; %bb.106:                              ;   in Loop: Header=BB4_81 Depth=1
	s_clause 0x1
	global_load_b128 v[2:5], v10, s[10:11] scale_offset
	global_load_b128 v[6:9], v10, s[18:19] scale_offset
	s_mov_b32 s8, exec_lo
	s_wait_loadcnt 0x1
	v_mul_f32_e32 v2, v14, v2
	s_wait_loadcnt 0x0
	s_delay_alu instid0(VALU_DEP_1) | instskip(NEXT) | instid1(VALU_DEP_1)
	v_mul_f32_e32 v2, v2, v6
	v_div_scale_f32 v6, null, v15, v15, v2
	v_div_scale_f32 v13, vcc_lo, v2, v15, v2
	s_delay_alu instid0(VALU_DEP_2) | instskip(SKIP_1) | instid1(TRANS32_DEP_1)
	v_rcp_f32_e32 v11, v6
	v_nop
	v_fma_f32 v12, -v6, v11, 1.0
	s_delay_alu instid0(VALU_DEP_1) | instskip(NEXT) | instid1(VALU_DEP_1)
	v_fmac_f32_e32 v11, v12, v11
	v_mul_f32_e32 v12, v13, v11
	s_delay_alu instid0(VALU_DEP_1) | instskip(NEXT) | instid1(VALU_DEP_1)
	v_fma_f32 v16, -v6, v12, v13
	v_fmac_f32_e32 v12, v16, v11
	s_delay_alu instid0(VALU_DEP_1) | instskip(NEXT) | instid1(VALU_DEP_1)
	v_fma_f32 v6, -v6, v12, v13
	v_div_fmas_f32 v6, v6, v11, v12
	s_delay_alu instid0(VALU_DEP_1) | instskip(NEXT) | instid1(VALU_DEP_1)
	v_div_fixup_f32 v2, v6, v15, v2
	v_minmax_num_f32 v6, v2, s5, 0xc3600000
	v_mov_b32_e32 v2, 0x80
	s_delay_alu instid0(VALU_DEP_2) | instskip(SKIP_1) | instid1(VALU_DEP_1)
	v_and_b32_e32 v11, 0x7fffffff, v6
	s_wait_xcnt 0x0
	v_cmpx_gt_u32_e32 0x43800000, v11
	s_cbranch_execz .LBB4_112
; %bb.107:                              ;   in Loop: Header=BB4_81 Depth=1
	v_cmp_lt_u32_e32 vcc_lo, 0x3bffffff, v11
	s_mov_b32 s9, 0
                                        ; implicit-def: $vgpr11
	s_and_saveexec_b32 s12, vcc_lo
	s_delay_alu instid0(SALU_CYCLE_1)
	s_xor_b32 s12, exec_lo, s12
	s_cbranch_execnz .LBB4_186
; %bb.108:                              ;   in Loop: Header=BB4_81 Depth=1
	s_and_not1_saveexec_b32 s12, s12
	s_cbranch_execnz .LBB4_187
.LBB4_109:                              ;   in Loop: Header=BB4_81 Depth=1
	s_or_b32 exec_lo, exec_lo, s12
	v_mov_b32_e32 v2, 0
	s_and_saveexec_b32 s12, s9
.LBB4_110:                              ;   in Loop: Header=BB4_81 Depth=1
	v_lshrrev_b32_e32 v2, 24, v6
	s_delay_alu instid0(VALU_DEP_1)
	v_and_or_b32 v2, 0x80, v2, v11
.LBB4_111:                              ;   in Loop: Header=BB4_81 Depth=1
	s_or_b32 exec_lo, exec_lo, s12
.LBB4_112:                              ;   in Loop: Header=BB4_81 Depth=1
	s_delay_alu instid0(SALU_CYCLE_1) | instskip(SKIP_2) | instid1(VALU_DEP_1)
	s_or_b32 exec_lo, exec_lo, s8
	v_mul_f32_e32 v3, v14, v3
	s_mov_b32 s8, exec_lo
	v_mul_f32_e32 v3, v3, v7
	s_delay_alu instid0(VALU_DEP_1) | instskip(SKIP_1) | instid1(VALU_DEP_2)
	v_div_scale_f32 v6, null, v15, v15, v3
	v_div_scale_f32 v12, vcc_lo, v3, v15, v3
	v_rcp_f32_e32 v7, v6
	v_nop
	s_delay_alu instid0(TRANS32_DEP_1) | instskip(NEXT) | instid1(VALU_DEP_1)
	v_fma_f32 v11, -v6, v7, 1.0
	v_fmac_f32_e32 v7, v11, v7
	s_delay_alu instid0(VALU_DEP_1) | instskip(NEXT) | instid1(VALU_DEP_1)
	v_mul_f32_e32 v11, v12, v7
	v_fma_f32 v13, -v6, v11, v12
	s_delay_alu instid0(VALU_DEP_1) | instskip(NEXT) | instid1(VALU_DEP_1)
	v_fmac_f32_e32 v11, v13, v7
	v_fma_f32 v6, -v6, v11, v12
	s_delay_alu instid0(VALU_DEP_1) | instskip(NEXT) | instid1(VALU_DEP_1)
	v_div_fmas_f32 v6, v6, v7, v11
	v_div_fixup_f32 v3, v6, v15, v3
	s_delay_alu instid0(VALU_DEP_1) | instskip(SKIP_1) | instid1(VALU_DEP_2)
	v_minmax_num_f32 v6, v3, s5, 0xc3600000
	v_mov_b32_e32 v3, 0x8000
	v_and_b32_e32 v7, 0x7fffffff, v6
	s_delay_alu instid0(VALU_DEP_1)
	v_cmpx_gt_u32_e32 0x43800000, v7
	s_cbranch_execz .LBB4_118
; %bb.113:                              ;   in Loop: Header=BB4_81 Depth=1
	v_cmp_lt_u32_e32 vcc_lo, 0x3bffffff, v7
	s_mov_b32 s9, 0
                                        ; implicit-def: $vgpr7
	s_and_saveexec_b32 s12, vcc_lo
	s_delay_alu instid0(SALU_CYCLE_1)
	s_xor_b32 s12, exec_lo, s12
	s_cbranch_execnz .LBB4_188
; %bb.114:                              ;   in Loop: Header=BB4_81 Depth=1
	s_and_not1_saveexec_b32 s12, s12
	s_cbranch_execnz .LBB4_189
.LBB4_115:                              ;   in Loop: Header=BB4_81 Depth=1
	s_or_b32 exec_lo, exec_lo, s12
	v_mov_b32_e32 v3, 0
	s_and_saveexec_b32 s12, s9
.LBB4_116:                              ;   in Loop: Header=BB4_81 Depth=1
	v_lshrrev_b32_e32 v3, 24, v6
	s_delay_alu instid0(VALU_DEP_1) | instskip(NEXT) | instid1(VALU_DEP_1)
	v_and_or_b32 v3, 0x80, v3, v7
	v_lshlrev_b32_e32 v3, 8, v3
.LBB4_117:                              ;   in Loop: Header=BB4_81 Depth=1
	s_or_b32 exec_lo, exec_lo, s12
.LBB4_118:                              ;   in Loop: Header=BB4_81 Depth=1
	s_delay_alu instid0(SALU_CYCLE_1) | instskip(SKIP_2) | instid1(VALU_DEP_1)
	s_or_b32 exec_lo, exec_lo, s8
	v_mul_f32_e32 v4, v14, v4
	s_mov_b32 s8, exec_lo
	v_mul_f32_e32 v4, v4, v8
	s_delay_alu instid0(VALU_DEP_1) | instskip(SKIP_1) | instid1(VALU_DEP_2)
	v_div_scale_f32 v6, null, v15, v15, v4
	v_div_scale_f32 v11, vcc_lo, v4, v15, v4
	v_rcp_f32_e32 v7, v6
	v_nop
	s_delay_alu instid0(TRANS32_DEP_1) | instskip(NEXT) | instid1(VALU_DEP_1)
	v_fma_f32 v8, -v6, v7, 1.0
	v_fmac_f32_e32 v7, v8, v7
	s_delay_alu instid0(VALU_DEP_1) | instskip(NEXT) | instid1(VALU_DEP_1)
	v_mul_f32_e32 v8, v11, v7
	v_fma_f32 v12, -v6, v8, v11
	s_delay_alu instid0(VALU_DEP_1) | instskip(NEXT) | instid1(VALU_DEP_1)
	v_fmac_f32_e32 v8, v12, v7
	v_fma_f32 v6, -v6, v8, v11
	s_delay_alu instid0(VALU_DEP_1) | instskip(NEXT) | instid1(VALU_DEP_1)
	v_div_fmas_f32 v6, v6, v7, v8
	v_div_fixup_f32 v4, v6, v15, v4
	s_delay_alu instid0(VALU_DEP_1) | instskip(SKIP_1) | instid1(VALU_DEP_2)
	v_minmax_num_f32 v6, v4, s5, 0xc3600000
	v_mov_b32_e32 v4, 0x800000
	v_and_b32_e32 v7, 0x7fffffff, v6
	s_delay_alu instid0(VALU_DEP_1)
	v_cmpx_gt_u32_e32 0x43800000, v7
	s_cbranch_execz .LBB4_124
; %bb.119:                              ;   in Loop: Header=BB4_81 Depth=1
	v_cmp_lt_u32_e32 vcc_lo, 0x3bffffff, v7
	s_mov_b32 s9, 0
                                        ; implicit-def: $vgpr7
	s_and_saveexec_b32 s12, vcc_lo
	s_delay_alu instid0(SALU_CYCLE_1)
	s_xor_b32 s12, exec_lo, s12
	s_cbranch_execnz .LBB4_190
; %bb.120:                              ;   in Loop: Header=BB4_81 Depth=1
	s_and_not1_saveexec_b32 s12, s12
	s_cbranch_execnz .LBB4_191
.LBB4_121:                              ;   in Loop: Header=BB4_81 Depth=1
	s_or_b32 exec_lo, exec_lo, s12
	v_mov_b32_e32 v4, 0
	s_and_saveexec_b32 s12, s9
.LBB4_122:                              ;   in Loop: Header=BB4_81 Depth=1
	v_lshrrev_b32_e32 v4, 24, v6
	s_delay_alu instid0(VALU_DEP_1) | instskip(NEXT) | instid1(VALU_DEP_1)
	v_and_or_b32 v4, 0x80, v4, v7
	v_lshlrev_b32_e32 v4, 16, v4
.LBB4_123:                              ;   in Loop: Header=BB4_81 Depth=1
	s_or_b32 exec_lo, exec_lo, s12
.LBB4_124:                              ;   in Loop: Header=BB4_81 Depth=1
	s_delay_alu instid0(SALU_CYCLE_1) | instskip(SKIP_2) | instid1(VALU_DEP_1)
	s_or_b32 exec_lo, exec_lo, s8
	v_mul_f32_e32 v5, v14, v5
	s_mov_b32 s8, exec_lo
	v_mul_f32_e32 v5, v5, v9
	s_delay_alu instid0(VALU_DEP_1) | instskip(SKIP_1) | instid1(VALU_DEP_2)
	v_div_scale_f32 v6, null, v15, v15, v5
	v_div_scale_f32 v9, vcc_lo, v5, v15, v5
	v_rcp_f32_e32 v7, v6
	v_nop
	s_delay_alu instid0(TRANS32_DEP_1) | instskip(NEXT) | instid1(VALU_DEP_1)
	v_fma_f32 v8, -v6, v7, 1.0
	v_fmac_f32_e32 v7, v8, v7
	s_delay_alu instid0(VALU_DEP_1) | instskip(NEXT) | instid1(VALU_DEP_1)
	v_mul_f32_e32 v8, v9, v7
	v_fma_f32 v11, -v6, v8, v9
	s_delay_alu instid0(VALU_DEP_1) | instskip(NEXT) | instid1(VALU_DEP_1)
	v_fmac_f32_e32 v8, v11, v7
	v_fma_f32 v6, -v6, v8, v9
	s_delay_alu instid0(VALU_DEP_1) | instskip(SKIP_1) | instid1(VALU_DEP_2)
	v_div_fmas_f32 v6, v6, v7, v8
	v_bfrev_b32_e32 v7, 1
	v_div_fixup_f32 v5, v6, v15, v5
	s_delay_alu instid0(VALU_DEP_1) | instskip(NEXT) | instid1(VALU_DEP_1)
	v_minmax_num_f32 v5, v5, s5, 0xc3600000
	v_and_b32_e32 v6, 0x7fffffff, v5
	s_delay_alu instid0(VALU_DEP_1)
	v_cmpx_gt_u32_e32 0x43800000, v6
	s_cbranch_execz .LBB4_130
; %bb.125:                              ;   in Loop: Header=BB4_81 Depth=1
	v_cmp_lt_u32_e32 vcc_lo, 0x3bffffff, v6
	s_mov_b32 s9, 0
                                        ; implicit-def: $vgpr6
	s_and_saveexec_b32 s12, vcc_lo
	s_delay_alu instid0(SALU_CYCLE_1)
	s_xor_b32 s12, exec_lo, s12
	s_cbranch_execnz .LBB4_192
; %bb.126:                              ;   in Loop: Header=BB4_81 Depth=1
	s_and_not1_saveexec_b32 s12, s12
	s_cbranch_execnz .LBB4_193
.LBB4_127:                              ;   in Loop: Header=BB4_81 Depth=1
	s_or_b32 exec_lo, exec_lo, s12
	v_mov_b32_e32 v7, 0
	s_and_saveexec_b32 s12, s9
.LBB4_128:                              ;   in Loop: Header=BB4_81 Depth=1
	v_and_b32_e32 v5, 0x80000000, v5
	s_delay_alu instid0(VALU_DEP_1)
	v_lshl_or_b32 v7, v6, 24, v5
.LBB4_129:                              ;   in Loop: Header=BB4_81 Depth=1
	s_or_b32 exec_lo, exec_lo, s12
.LBB4_130:                              ;   in Loop: Header=BB4_81 Depth=1
	s_delay_alu instid0(SALU_CYCLE_1) | instskip(SKIP_4) | instid1(VALU_DEP_2)
	s_or_b32 exec_lo, exec_lo, s8
	v_dual_mov_b32 v11, v1 :: v_dual_bitop2_b32 v5, v3, v2 bitop3:0x54
	v_add_nc_u32_e32 v12, s2, v0
	s_mov_b32 s9, -1
	s_mov_b32 s8, exec_lo
	v_lshl_add_u64 v[2:3], v[10:11], 2, s[0:1]
	v_or3_b32 v4, v5, v4, v7
	global_store_b32 v[2:3], v4, off
	s_wait_xcnt 0x0
	v_cmpx_gt_u32_e64 s28, v12
	s_cbranch_execz .LBB4_79
; %bb.131:                              ;   in Loop: Header=BB4_81 Depth=1
	s_clause 0x1
	global_load_b128 v[2:5], v12, s[10:11] scale_offset
	global_load_b128 v[6:9], v12, s[18:19] scale_offset
	s_mov_b32 s9, exec_lo
	s_wait_loadcnt 0x1
	v_mul_f32_e32 v2, v14, v2
	s_wait_loadcnt 0x0
	s_delay_alu instid0(VALU_DEP_1) | instskip(NEXT) | instid1(VALU_DEP_1)
	v_mul_f32_e32 v2, v2, v6
	v_div_scale_f32 v6, null, v15, v15, v2
	v_div_scale_f32 v16, vcc_lo, v2, v15, v2
	s_delay_alu instid0(VALU_DEP_2) | instskip(SKIP_1) | instid1(TRANS32_DEP_1)
	v_rcp_f32_e32 v11, v6
	v_nop
	v_fma_f32 v13, -v6, v11, 1.0
	s_delay_alu instid0(VALU_DEP_1) | instskip(NEXT) | instid1(VALU_DEP_1)
	v_fmac_f32_e32 v11, v13, v11
	v_mul_f32_e32 v13, v16, v11
	s_delay_alu instid0(VALU_DEP_1) | instskip(NEXT) | instid1(VALU_DEP_1)
	v_fma_f32 v17, -v6, v13, v16
	v_fmac_f32_e32 v13, v17, v11
	s_delay_alu instid0(VALU_DEP_1) | instskip(NEXT) | instid1(VALU_DEP_1)
	v_fma_f32 v6, -v6, v13, v16
	v_div_fmas_f32 v6, v6, v11, v13
	s_delay_alu instid0(VALU_DEP_1) | instskip(NEXT) | instid1(VALU_DEP_1)
	v_div_fixup_f32 v2, v6, v15, v2
	v_minmax_num_f32 v6, v2, s5, 0xc3600000
	v_mov_b32_e32 v2, 0x80
	s_delay_alu instid0(VALU_DEP_2) | instskip(SKIP_1) | instid1(VALU_DEP_1)
	v_and_b32_e32 v11, 0x7fffffff, v6
	s_wait_xcnt 0x0
	v_cmpx_gt_u32_e32 0x43800000, v11
	s_cbranch_execz .LBB4_137
; %bb.132:                              ;   in Loop: Header=BB4_81 Depth=1
	v_cmp_lt_u32_e32 vcc_lo, 0x3bffffff, v11
	s_mov_b32 s12, 0
                                        ; implicit-def: $vgpr11
	s_and_saveexec_b32 s13, vcc_lo
	s_delay_alu instid0(SALU_CYCLE_1)
	s_xor_b32 s13, exec_lo, s13
	s_cbranch_execnz .LBB4_194
; %bb.133:                              ;   in Loop: Header=BB4_81 Depth=1
	s_and_not1_saveexec_b32 s13, s13
	s_cbranch_execnz .LBB4_195
.LBB4_134:                              ;   in Loop: Header=BB4_81 Depth=1
	s_or_b32 exec_lo, exec_lo, s13
	v_mov_b32_e32 v2, 0
	s_and_saveexec_b32 s13, s12
.LBB4_135:                              ;   in Loop: Header=BB4_81 Depth=1
	v_lshrrev_b32_e32 v2, 24, v6
	s_delay_alu instid0(VALU_DEP_1)
	v_and_or_b32 v2, 0x80, v2, v11
.LBB4_136:                              ;   in Loop: Header=BB4_81 Depth=1
	s_or_b32 exec_lo, exec_lo, s13
.LBB4_137:                              ;   in Loop: Header=BB4_81 Depth=1
	s_delay_alu instid0(SALU_CYCLE_1) | instskip(SKIP_2) | instid1(VALU_DEP_1)
	s_or_b32 exec_lo, exec_lo, s9
	v_mul_f32_e32 v3, v14, v3
	s_mov_b32 s9, exec_lo
	v_mul_f32_e32 v3, v3, v7
	s_delay_alu instid0(VALU_DEP_1) | instskip(SKIP_1) | instid1(VALU_DEP_2)
	v_div_scale_f32 v6, null, v15, v15, v3
	v_div_scale_f32 v13, vcc_lo, v3, v15, v3
	v_rcp_f32_e32 v7, v6
	v_nop
	s_delay_alu instid0(TRANS32_DEP_1) | instskip(NEXT) | instid1(VALU_DEP_1)
	v_fma_f32 v11, -v6, v7, 1.0
	v_fmac_f32_e32 v7, v11, v7
	s_delay_alu instid0(VALU_DEP_1) | instskip(NEXT) | instid1(VALU_DEP_1)
	v_mul_f32_e32 v11, v13, v7
	v_fma_f32 v16, -v6, v11, v13
	s_delay_alu instid0(VALU_DEP_1) | instskip(NEXT) | instid1(VALU_DEP_1)
	v_fmac_f32_e32 v11, v16, v7
	v_fma_f32 v6, -v6, v11, v13
	s_delay_alu instid0(VALU_DEP_1) | instskip(NEXT) | instid1(VALU_DEP_1)
	v_div_fmas_f32 v6, v6, v7, v11
	v_div_fixup_f32 v3, v6, v15, v3
	s_delay_alu instid0(VALU_DEP_1) | instskip(SKIP_1) | instid1(VALU_DEP_2)
	v_minmax_num_f32 v6, v3, s5, 0xc3600000
	v_mov_b32_e32 v3, 0x8000
	v_and_b32_e32 v7, 0x7fffffff, v6
	s_delay_alu instid0(VALU_DEP_1)
	v_cmpx_gt_u32_e32 0x43800000, v7
	s_cbranch_execz .LBB4_143
; %bb.138:                              ;   in Loop: Header=BB4_81 Depth=1
	v_cmp_lt_u32_e32 vcc_lo, 0x3bffffff, v7
	s_mov_b32 s12, 0
                                        ; implicit-def: $vgpr7
	s_and_saveexec_b32 s13, vcc_lo
	s_delay_alu instid0(SALU_CYCLE_1)
	s_xor_b32 s13, exec_lo, s13
	s_cbranch_execnz .LBB4_196
; %bb.139:                              ;   in Loop: Header=BB4_81 Depth=1
	s_and_not1_saveexec_b32 s13, s13
	s_cbranch_execnz .LBB4_197
.LBB4_140:                              ;   in Loop: Header=BB4_81 Depth=1
	s_or_b32 exec_lo, exec_lo, s13
	v_mov_b32_e32 v3, 0
	s_and_saveexec_b32 s13, s12
.LBB4_141:                              ;   in Loop: Header=BB4_81 Depth=1
	v_lshrrev_b32_e32 v3, 24, v6
	s_delay_alu instid0(VALU_DEP_1) | instskip(NEXT) | instid1(VALU_DEP_1)
	v_and_or_b32 v3, 0x80, v3, v7
	v_lshlrev_b32_e32 v3, 8, v3
.LBB4_142:                              ;   in Loop: Header=BB4_81 Depth=1
	s_or_b32 exec_lo, exec_lo, s13
.LBB4_143:                              ;   in Loop: Header=BB4_81 Depth=1
	s_delay_alu instid0(SALU_CYCLE_1) | instskip(SKIP_2) | instid1(VALU_DEP_1)
	s_or_b32 exec_lo, exec_lo, s9
	v_mul_f32_e32 v4, v14, v4
	s_mov_b32 s9, exec_lo
	v_mul_f32_e32 v4, v4, v8
	s_delay_alu instid0(VALU_DEP_1) | instskip(SKIP_1) | instid1(VALU_DEP_2)
	v_div_scale_f32 v6, null, v15, v15, v4
	v_div_scale_f32 v11, vcc_lo, v4, v15, v4
	v_rcp_f32_e32 v7, v6
	v_nop
	s_delay_alu instid0(TRANS32_DEP_1) | instskip(NEXT) | instid1(VALU_DEP_1)
	v_fma_f32 v8, -v6, v7, 1.0
	v_fmac_f32_e32 v7, v8, v7
	s_delay_alu instid0(VALU_DEP_1) | instskip(NEXT) | instid1(VALU_DEP_1)
	v_mul_f32_e32 v8, v11, v7
	v_fma_f32 v13, -v6, v8, v11
	s_delay_alu instid0(VALU_DEP_1) | instskip(NEXT) | instid1(VALU_DEP_1)
	v_fmac_f32_e32 v8, v13, v7
	v_fma_f32 v6, -v6, v8, v11
	s_delay_alu instid0(VALU_DEP_1) | instskip(NEXT) | instid1(VALU_DEP_1)
	v_div_fmas_f32 v6, v6, v7, v8
	v_div_fixup_f32 v4, v6, v15, v4
	s_delay_alu instid0(VALU_DEP_1) | instskip(SKIP_1) | instid1(VALU_DEP_2)
	v_minmax_num_f32 v6, v4, s5, 0xc3600000
	v_mov_b32_e32 v4, 0x800000
	v_and_b32_e32 v7, 0x7fffffff, v6
	s_delay_alu instid0(VALU_DEP_1)
	v_cmpx_gt_u32_e32 0x43800000, v7
	s_cbranch_execz .LBB4_149
; %bb.144:                              ;   in Loop: Header=BB4_81 Depth=1
	v_cmp_lt_u32_e32 vcc_lo, 0x3bffffff, v7
	s_mov_b32 s12, 0
                                        ; implicit-def: $vgpr7
	s_and_saveexec_b32 s13, vcc_lo
	s_delay_alu instid0(SALU_CYCLE_1)
	s_xor_b32 s13, exec_lo, s13
	s_cbranch_execnz .LBB4_198
; %bb.145:                              ;   in Loop: Header=BB4_81 Depth=1
	s_and_not1_saveexec_b32 s13, s13
	s_cbranch_execnz .LBB4_199
.LBB4_146:                              ;   in Loop: Header=BB4_81 Depth=1
	s_or_b32 exec_lo, exec_lo, s13
	v_mov_b32_e32 v4, 0
	s_and_saveexec_b32 s13, s12
.LBB4_147:                              ;   in Loop: Header=BB4_81 Depth=1
	v_lshrrev_b32_e32 v4, 24, v6
	s_delay_alu instid0(VALU_DEP_1) | instskip(NEXT) | instid1(VALU_DEP_1)
	v_and_or_b32 v4, 0x80, v4, v7
	v_lshlrev_b32_e32 v4, 16, v4
.LBB4_148:                              ;   in Loop: Header=BB4_81 Depth=1
	s_or_b32 exec_lo, exec_lo, s13
.LBB4_149:                              ;   in Loop: Header=BB4_81 Depth=1
	s_delay_alu instid0(SALU_CYCLE_1) | instskip(SKIP_2) | instid1(VALU_DEP_1)
	s_or_b32 exec_lo, exec_lo, s9
	v_mul_f32_e32 v5, v14, v5
	s_mov_b32 s9, exec_lo
	v_mul_f32_e32 v5, v5, v9
	s_delay_alu instid0(VALU_DEP_1) | instskip(SKIP_1) | instid1(VALU_DEP_2)
	v_div_scale_f32 v6, null, v15, v15, v5
	v_div_scale_f32 v9, vcc_lo, v5, v15, v5
	v_rcp_f32_e32 v7, v6
	v_nop
	s_delay_alu instid0(TRANS32_DEP_1) | instskip(NEXT) | instid1(VALU_DEP_1)
	v_fma_f32 v8, -v6, v7, 1.0
	v_fmac_f32_e32 v7, v8, v7
	s_delay_alu instid0(VALU_DEP_1) | instskip(NEXT) | instid1(VALU_DEP_1)
	v_mul_f32_e32 v8, v9, v7
	v_fma_f32 v11, -v6, v8, v9
	s_delay_alu instid0(VALU_DEP_1) | instskip(NEXT) | instid1(VALU_DEP_1)
	v_fmac_f32_e32 v8, v11, v7
	v_fma_f32 v6, -v6, v8, v9
	s_delay_alu instid0(VALU_DEP_1) | instskip(SKIP_1) | instid1(VALU_DEP_2)
	v_div_fmas_f32 v6, v6, v7, v8
	v_bfrev_b32_e32 v7, 1
	v_div_fixup_f32 v5, v6, v15, v5
	s_delay_alu instid0(VALU_DEP_1) | instskip(NEXT) | instid1(VALU_DEP_1)
	v_minmax_num_f32 v5, v5, s5, 0xc3600000
	v_and_b32_e32 v6, 0x7fffffff, v5
	s_delay_alu instid0(VALU_DEP_1)
	v_cmpx_gt_u32_e32 0x43800000, v6
	s_cbranch_execz .LBB4_155
; %bb.150:                              ;   in Loop: Header=BB4_81 Depth=1
	v_cmp_lt_u32_e32 vcc_lo, 0x3bffffff, v6
	s_mov_b32 s12, 0
                                        ; implicit-def: $vgpr6
	s_and_saveexec_b32 s13, vcc_lo
	s_delay_alu instid0(SALU_CYCLE_1)
	s_xor_b32 s13, exec_lo, s13
	s_cbranch_execnz .LBB4_200
; %bb.151:                              ;   in Loop: Header=BB4_81 Depth=1
	s_and_not1_saveexec_b32 s13, s13
	s_cbranch_execnz .LBB4_201
.LBB4_152:                              ;   in Loop: Header=BB4_81 Depth=1
	s_or_b32 exec_lo, exec_lo, s13
	v_mov_b32_e32 v7, 0
	s_and_saveexec_b32 s13, s12
.LBB4_153:                              ;   in Loop: Header=BB4_81 Depth=1
	v_and_b32_e32 v5, 0x80000000, v5
	s_delay_alu instid0(VALU_DEP_1)
	v_lshl_or_b32 v7, v6, 24, v5
.LBB4_154:                              ;   in Loop: Header=BB4_81 Depth=1
	s_or_b32 exec_lo, exec_lo, s13
.LBB4_155:                              ;   in Loop: Header=BB4_81 Depth=1
	s_delay_alu instid0(SALU_CYCLE_1) | instskip(SKIP_4) | instid1(VALU_DEP_2)
	s_or_b32 exec_lo, exec_lo, s9
	v_dual_mov_b32 v13, v1 :: v_dual_bitop2_b32 v5, v3, v2 bitop3:0x54
	v_add_nc_u32_e32 v0, s3, v0
	s_mov_b32 s12, -1
	s_mov_b32 s9, exec_lo
	v_lshl_add_u64 v[2:3], v[12:13], 2, s[0:1]
	v_or3_b32 v4, v5, v4, v7
	global_store_b32 v[2:3], v4, off
	s_wait_xcnt 0x0
	v_cmpx_gt_u32_e64 s28, v0
	s_cbranch_execz .LBB4_78
; %bb.156:                              ;   in Loop: Header=BB4_81 Depth=1
	s_clause 0x1
	global_load_b128 v[2:5], v0, s[10:11] scale_offset
	global_load_b128 v[6:9], v0, s[18:19] scale_offset
	s_mov_b32 s12, exec_lo
	s_wait_loadcnt 0x1
	v_mul_f32_e32 v2, v14, v2
	s_wait_loadcnt 0x0
	s_delay_alu instid0(VALU_DEP_1) | instskip(NEXT) | instid1(VALU_DEP_1)
	v_mul_f32_e32 v2, v2, v6
	v_div_scale_f32 v6, null, v15, v15, v2
	v_div_scale_f32 v13, vcc_lo, v2, v15, v2
	s_delay_alu instid0(VALU_DEP_2) | instskip(SKIP_1) | instid1(TRANS32_DEP_1)
	v_rcp_f32_e32 v11, v6
	v_nop
	v_fma_f32 v12, -v6, v11, 1.0
	s_delay_alu instid0(VALU_DEP_1) | instskip(NEXT) | instid1(VALU_DEP_1)
	v_fmac_f32_e32 v11, v12, v11
	v_mul_f32_e32 v12, v13, v11
	s_delay_alu instid0(VALU_DEP_1) | instskip(NEXT) | instid1(VALU_DEP_1)
	v_fma_f32 v16, -v6, v12, v13
	v_fmac_f32_e32 v12, v16, v11
	s_delay_alu instid0(VALU_DEP_1) | instskip(NEXT) | instid1(VALU_DEP_1)
	v_fma_f32 v6, -v6, v12, v13
	v_div_fmas_f32 v6, v6, v11, v12
	s_delay_alu instid0(VALU_DEP_1) | instskip(NEXT) | instid1(VALU_DEP_1)
	v_div_fixup_f32 v2, v6, v15, v2
	v_minmax_num_f32 v6, v2, s5, 0xc3600000
	v_mov_b32_e32 v2, 0x80
	s_delay_alu instid0(VALU_DEP_2) | instskip(SKIP_1) | instid1(VALU_DEP_1)
	v_and_b32_e32 v11, 0x7fffffff, v6
	s_wait_xcnt 0x0
	v_cmpx_gt_u32_e32 0x43800000, v11
	s_cbranch_execz .LBB4_162
; %bb.157:                              ;   in Loop: Header=BB4_81 Depth=1
	v_cmp_lt_u32_e32 vcc_lo, 0x3bffffff, v11
	s_mov_b32 s13, 0
                                        ; implicit-def: $vgpr11
	s_and_saveexec_b32 s14, vcc_lo
	s_delay_alu instid0(SALU_CYCLE_1)
	s_xor_b32 s14, exec_lo, s14
	s_cbranch_execnz .LBB4_202
; %bb.158:                              ;   in Loop: Header=BB4_81 Depth=1
	s_and_not1_saveexec_b32 s14, s14
	s_cbranch_execnz .LBB4_203
.LBB4_159:                              ;   in Loop: Header=BB4_81 Depth=1
	s_or_b32 exec_lo, exec_lo, s14
	v_mov_b32_e32 v2, 0
	s_and_saveexec_b32 s14, s13
.LBB4_160:                              ;   in Loop: Header=BB4_81 Depth=1
	v_lshrrev_b32_e32 v2, 24, v6
	s_delay_alu instid0(VALU_DEP_1)
	v_and_or_b32 v2, 0x80, v2, v11
.LBB4_161:                              ;   in Loop: Header=BB4_81 Depth=1
	s_or_b32 exec_lo, exec_lo, s14
.LBB4_162:                              ;   in Loop: Header=BB4_81 Depth=1
	s_delay_alu instid0(SALU_CYCLE_1) | instskip(SKIP_2) | instid1(VALU_DEP_1)
	s_or_b32 exec_lo, exec_lo, s12
	v_mul_f32_e32 v3, v14, v3
	s_mov_b32 s12, exec_lo
	v_mul_f32_e32 v3, v3, v7
	s_delay_alu instid0(VALU_DEP_1) | instskip(SKIP_1) | instid1(VALU_DEP_2)
	v_div_scale_f32 v6, null, v15, v15, v3
	v_div_scale_f32 v12, vcc_lo, v3, v15, v3
	v_rcp_f32_e32 v7, v6
	v_nop
	s_delay_alu instid0(TRANS32_DEP_1) | instskip(NEXT) | instid1(VALU_DEP_1)
	v_fma_f32 v11, -v6, v7, 1.0
	v_fmac_f32_e32 v7, v11, v7
	s_delay_alu instid0(VALU_DEP_1) | instskip(NEXT) | instid1(VALU_DEP_1)
	v_mul_f32_e32 v11, v12, v7
	v_fma_f32 v13, -v6, v11, v12
	s_delay_alu instid0(VALU_DEP_1) | instskip(NEXT) | instid1(VALU_DEP_1)
	v_fmac_f32_e32 v11, v13, v7
	v_fma_f32 v6, -v6, v11, v12
	s_delay_alu instid0(VALU_DEP_1) | instskip(NEXT) | instid1(VALU_DEP_1)
	v_div_fmas_f32 v6, v6, v7, v11
	v_div_fixup_f32 v3, v6, v15, v3
	s_delay_alu instid0(VALU_DEP_1) | instskip(SKIP_1) | instid1(VALU_DEP_2)
	v_minmax_num_f32 v6, v3, s5, 0xc3600000
	v_mov_b32_e32 v3, 0x8000
	v_and_b32_e32 v7, 0x7fffffff, v6
	s_delay_alu instid0(VALU_DEP_1)
	v_cmpx_gt_u32_e32 0x43800000, v7
	s_cbranch_execz .LBB4_168
; %bb.163:                              ;   in Loop: Header=BB4_81 Depth=1
	v_cmp_lt_u32_e32 vcc_lo, 0x3bffffff, v7
	s_mov_b32 s13, 0
                                        ; implicit-def: $vgpr7
	s_and_saveexec_b32 s14, vcc_lo
	s_delay_alu instid0(SALU_CYCLE_1)
	s_xor_b32 s14, exec_lo, s14
	s_cbranch_execnz .LBB4_204
; %bb.164:                              ;   in Loop: Header=BB4_81 Depth=1
	s_and_not1_saveexec_b32 s14, s14
	s_cbranch_execnz .LBB4_205
.LBB4_165:                              ;   in Loop: Header=BB4_81 Depth=1
	s_or_b32 exec_lo, exec_lo, s14
	v_mov_b32_e32 v3, 0
	s_and_saveexec_b32 s14, s13
.LBB4_166:                              ;   in Loop: Header=BB4_81 Depth=1
	v_lshrrev_b32_e32 v3, 24, v6
	s_delay_alu instid0(VALU_DEP_1) | instskip(NEXT) | instid1(VALU_DEP_1)
	v_and_or_b32 v3, 0x80, v3, v7
	v_lshlrev_b32_e32 v3, 8, v3
.LBB4_167:                              ;   in Loop: Header=BB4_81 Depth=1
	s_or_b32 exec_lo, exec_lo, s14
.LBB4_168:                              ;   in Loop: Header=BB4_81 Depth=1
	s_delay_alu instid0(SALU_CYCLE_1) | instskip(SKIP_2) | instid1(VALU_DEP_1)
	s_or_b32 exec_lo, exec_lo, s12
	v_mul_f32_e32 v4, v14, v4
	s_mov_b32 s12, exec_lo
	v_mul_f32_e32 v4, v4, v8
	s_delay_alu instid0(VALU_DEP_1) | instskip(SKIP_1) | instid1(VALU_DEP_2)
	v_div_scale_f32 v6, null, v15, v15, v4
	v_div_scale_f32 v11, vcc_lo, v4, v15, v4
	v_rcp_f32_e32 v7, v6
	v_nop
	s_delay_alu instid0(TRANS32_DEP_1) | instskip(NEXT) | instid1(VALU_DEP_1)
	v_fma_f32 v8, -v6, v7, 1.0
	v_fmac_f32_e32 v7, v8, v7
	s_delay_alu instid0(VALU_DEP_1) | instskip(NEXT) | instid1(VALU_DEP_1)
	v_mul_f32_e32 v8, v11, v7
	v_fma_f32 v12, -v6, v8, v11
	s_delay_alu instid0(VALU_DEP_1) | instskip(NEXT) | instid1(VALU_DEP_1)
	v_fmac_f32_e32 v8, v12, v7
	v_fma_f32 v6, -v6, v8, v11
	s_delay_alu instid0(VALU_DEP_1) | instskip(NEXT) | instid1(VALU_DEP_1)
	v_div_fmas_f32 v6, v6, v7, v8
	v_div_fixup_f32 v4, v6, v15, v4
	s_delay_alu instid0(VALU_DEP_1) | instskip(SKIP_1) | instid1(VALU_DEP_2)
	v_minmax_num_f32 v6, v4, s5, 0xc3600000
	v_mov_b32_e32 v4, 0x800000
	v_and_b32_e32 v7, 0x7fffffff, v6
	s_delay_alu instid0(VALU_DEP_1)
	v_cmpx_gt_u32_e32 0x43800000, v7
	s_cbranch_execz .LBB4_174
; %bb.169:                              ;   in Loop: Header=BB4_81 Depth=1
	v_cmp_lt_u32_e32 vcc_lo, 0x3bffffff, v7
	s_mov_b32 s13, 0
                                        ; implicit-def: $vgpr7
	s_and_saveexec_b32 s14, vcc_lo
	s_delay_alu instid0(SALU_CYCLE_1)
	s_xor_b32 s14, exec_lo, s14
	s_cbranch_execnz .LBB4_206
; %bb.170:                              ;   in Loop: Header=BB4_81 Depth=1
	s_and_not1_saveexec_b32 s14, s14
	s_cbranch_execnz .LBB4_207
.LBB4_171:                              ;   in Loop: Header=BB4_81 Depth=1
	s_or_b32 exec_lo, exec_lo, s14
	v_mov_b32_e32 v4, 0
	s_and_saveexec_b32 s14, s13
.LBB4_172:                              ;   in Loop: Header=BB4_81 Depth=1
	v_lshrrev_b32_e32 v4, 24, v6
	s_delay_alu instid0(VALU_DEP_1) | instskip(NEXT) | instid1(VALU_DEP_1)
	v_and_or_b32 v4, 0x80, v4, v7
	v_lshlrev_b32_e32 v4, 16, v4
.LBB4_173:                              ;   in Loop: Header=BB4_81 Depth=1
	s_or_b32 exec_lo, exec_lo, s14
.LBB4_174:                              ;   in Loop: Header=BB4_81 Depth=1
	s_delay_alu instid0(SALU_CYCLE_1) | instskip(SKIP_2) | instid1(VALU_DEP_1)
	s_or_b32 exec_lo, exec_lo, s12
	v_mul_f32_e32 v5, v14, v5
	s_mov_b32 s12, exec_lo
	v_mul_f32_e32 v5, v5, v9
	s_delay_alu instid0(VALU_DEP_1) | instskip(SKIP_1) | instid1(VALU_DEP_2)
	v_div_scale_f32 v6, null, v15, v15, v5
	v_div_scale_f32 v9, vcc_lo, v5, v15, v5
	v_rcp_f32_e32 v7, v6
	v_nop
	s_delay_alu instid0(TRANS32_DEP_1) | instskip(NEXT) | instid1(VALU_DEP_1)
	v_fma_f32 v8, -v6, v7, 1.0
	v_fmac_f32_e32 v7, v8, v7
	s_delay_alu instid0(VALU_DEP_1) | instskip(NEXT) | instid1(VALU_DEP_1)
	v_mul_f32_e32 v8, v9, v7
	v_fma_f32 v11, -v6, v8, v9
	s_delay_alu instid0(VALU_DEP_1) | instskip(NEXT) | instid1(VALU_DEP_1)
	v_fmac_f32_e32 v8, v11, v7
	v_fma_f32 v6, -v6, v8, v9
	s_delay_alu instid0(VALU_DEP_1) | instskip(SKIP_1) | instid1(VALU_DEP_2)
	v_div_fmas_f32 v6, v6, v7, v8
	v_bfrev_b32_e32 v7, 1
	v_div_fixup_f32 v5, v6, v15, v5
	s_delay_alu instid0(VALU_DEP_1) | instskip(NEXT) | instid1(VALU_DEP_1)
	v_minmax_num_f32 v5, v5, s5, 0xc3600000
	v_and_b32_e32 v6, 0x7fffffff, v5
	s_delay_alu instid0(VALU_DEP_1)
	v_cmpx_gt_u32_e32 0x43800000, v6
	s_cbranch_execz .LBB4_77
; %bb.175:                              ;   in Loop: Header=BB4_81 Depth=1
	v_cmp_lt_u32_e32 vcc_lo, 0x3bffffff, v6
	s_mov_b32 s13, 0
                                        ; implicit-def: $vgpr6
	s_and_saveexec_b32 s14, vcc_lo
	s_delay_alu instid0(SALU_CYCLE_1)
	s_xor_b32 s14, exec_lo, s14
	s_cbranch_execnz .LBB4_208
; %bb.176:                              ;   in Loop: Header=BB4_81 Depth=1
	s_and_not1_saveexec_b32 s14, s14
	s_cbranch_execnz .LBB4_209
.LBB4_177:                              ;   in Loop: Header=BB4_81 Depth=1
	s_or_b32 exec_lo, exec_lo, s14
	v_mov_b32_e32 v7, 0
	s_and_saveexec_b32 s14, s13
	s_cbranch_execz .LBB4_76
	s_branch .LBB4_210
.LBB4_178:                              ;   in Loop: Header=BB4_81 Depth=1
	v_bfe_u32 v2, v6, 20, 1
	s_mov_b32 s8, exec_lo
	s_delay_alu instid0(VALU_DEP_1) | instskip(NEXT) | instid1(VALU_DEP_1)
	v_add3_u32 v2, v6, v2, 0x487ffff
	v_bfe_u32 v10, v2, 20, 8
	s_and_not1_saveexec_b32 s9, s9
	s_cbranch_execz .LBB4_84
.LBB4_179:                              ;   in Loop: Header=BB4_81 Depth=1
	v_add_f32_e64 v2, 0x46000000, |v6|
	s_and_not1_b32 s8, s8, exec_lo
	s_delay_alu instid0(VALU_DEP_1) | instskip(NEXT) | instid1(VALU_DEP_1)
	v_and_b32_e32 v10, 0xff, v2
	v_cmp_ne_u32_e32 vcc_lo, 0, v10
	s_and_b32 s12, vcc_lo, exec_lo
	s_delay_alu instid0(SALU_CYCLE_1)
	s_or_b32 s8, s8, s12
	s_or_b32 exec_lo, exec_lo, s9
	v_mov_b32_e32 v2, 0
	s_and_saveexec_b32 s9, s8
	s_cbranch_execnz .LBB4_85
	s_branch .LBB4_86
.LBB4_180:                              ;   in Loop: Header=BB4_81 Depth=1
	v_bfe_u32 v3, v6, 20, 1
	s_mov_b32 s8, exec_lo
	s_delay_alu instid0(VALU_DEP_1) | instskip(NEXT) | instid1(VALU_DEP_1)
	v_add3_u32 v3, v6, v3, 0x487ffff
	v_bfe_u32 v7, v3, 20, 8
	s_and_not1_saveexec_b32 s9, s9
	s_cbranch_execz .LBB4_90
.LBB4_181:                              ;   in Loop: Header=BB4_81 Depth=1
	v_add_f32_e64 v3, 0x46000000, |v6|
	s_and_not1_b32 s8, s8, exec_lo
	s_delay_alu instid0(VALU_DEP_1) | instskip(NEXT) | instid1(VALU_DEP_1)
	v_and_b32_e32 v7, 0xff, v3
	v_cmp_ne_u32_e32 vcc_lo, 0, v7
	s_and_b32 s12, vcc_lo, exec_lo
	s_delay_alu instid0(SALU_CYCLE_1)
	s_or_b32 s8, s8, s12
	s_or_b32 exec_lo, exec_lo, s9
	v_mov_b32_e32 v3, 0
	s_and_saveexec_b32 s9, s8
	s_cbranch_execnz .LBB4_91
	s_branch .LBB4_92
.LBB4_182:                              ;   in Loop: Header=BB4_81 Depth=1
	v_bfe_u32 v4, v6, 20, 1
	s_mov_b32 s8, exec_lo
	s_delay_alu instid0(VALU_DEP_1) | instskip(NEXT) | instid1(VALU_DEP_1)
	v_add3_u32 v4, v6, v4, 0x487ffff
	v_bfe_u32 v7, v4, 20, 8
	s_and_not1_saveexec_b32 s9, s9
	s_cbranch_execz .LBB4_96
.LBB4_183:                              ;   in Loop: Header=BB4_81 Depth=1
	v_add_f32_e64 v4, 0x46000000, |v6|
	s_and_not1_b32 s8, s8, exec_lo
	s_delay_alu instid0(VALU_DEP_1) | instskip(NEXT) | instid1(VALU_DEP_1)
	v_and_b32_e32 v7, 0xff, v4
	v_cmp_ne_u32_e32 vcc_lo, 0, v7
	s_and_b32 s12, vcc_lo, exec_lo
	s_delay_alu instid0(SALU_CYCLE_1)
	s_or_b32 s8, s8, s12
	s_or_b32 exec_lo, exec_lo, s9
	v_mov_b32_e32 v4, 0
	s_and_saveexec_b32 s9, s8
	s_cbranch_execnz .LBB4_97
	s_branch .LBB4_98
.LBB4_184:                              ;   in Loop: Header=BB4_81 Depth=1
	v_bfe_u32 v6, v5, 20, 1
	s_mov_b32 s8, exec_lo
	s_delay_alu instid0(VALU_DEP_1) | instskip(NEXT) | instid1(VALU_DEP_1)
	v_add3_u32 v6, v5, v6, 0x487ffff
	v_bfe_u32 v6, v6, 20, 8
	s_and_not1_saveexec_b32 s9, s9
	s_cbranch_execz .LBB4_102
.LBB4_185:                              ;   in Loop: Header=BB4_81 Depth=1
	v_add_f32_e64 v6, 0x46000000, |v5|
	s_and_not1_b32 s8, s8, exec_lo
	s_delay_alu instid0(VALU_DEP_1) | instskip(NEXT) | instid1(VALU_DEP_1)
	v_and_b32_e32 v6, 0xff, v6
	v_cmp_ne_u32_e32 vcc_lo, 0, v6
	s_and_b32 s12, vcc_lo, exec_lo
	s_delay_alu instid0(SALU_CYCLE_1)
	s_or_b32 s8, s8, s12
	s_or_b32 exec_lo, exec_lo, s9
	v_mov_b32_e32 v7, 0
	s_and_saveexec_b32 s9, s8
	s_cbranch_execnz .LBB4_103
	s_branch .LBB4_104
.LBB4_186:                              ;   in Loop: Header=BB4_81 Depth=1
	v_bfe_u32 v2, v6, 20, 1
	s_mov_b32 s9, exec_lo
	s_delay_alu instid0(VALU_DEP_1) | instskip(NEXT) | instid1(VALU_DEP_1)
	v_add3_u32 v2, v6, v2, 0x487ffff
	v_bfe_u32 v11, v2, 20, 8
	s_and_not1_saveexec_b32 s12, s12
	s_cbranch_execz .LBB4_109
.LBB4_187:                              ;   in Loop: Header=BB4_81 Depth=1
	v_add_f32_e64 v2, 0x46000000, |v6|
	s_and_not1_b32 s9, s9, exec_lo
	s_delay_alu instid0(VALU_DEP_1) | instskip(NEXT) | instid1(VALU_DEP_1)
	v_and_b32_e32 v11, 0xff, v2
	v_cmp_ne_u32_e32 vcc_lo, 0, v11
	s_and_b32 s13, vcc_lo, exec_lo
	s_delay_alu instid0(SALU_CYCLE_1)
	s_or_b32 s9, s9, s13
	s_or_b32 exec_lo, exec_lo, s12
	v_mov_b32_e32 v2, 0
	s_and_saveexec_b32 s12, s9
	s_cbranch_execnz .LBB4_110
	s_branch .LBB4_111
.LBB4_188:                              ;   in Loop: Header=BB4_81 Depth=1
	v_bfe_u32 v3, v6, 20, 1
	s_mov_b32 s9, exec_lo
	s_delay_alu instid0(VALU_DEP_1) | instskip(NEXT) | instid1(VALU_DEP_1)
	v_add3_u32 v3, v6, v3, 0x487ffff
	v_bfe_u32 v7, v3, 20, 8
	s_and_not1_saveexec_b32 s12, s12
	s_cbranch_execz .LBB4_115
.LBB4_189:                              ;   in Loop: Header=BB4_81 Depth=1
	v_add_f32_e64 v3, 0x46000000, |v6|
	s_and_not1_b32 s9, s9, exec_lo
	s_delay_alu instid0(VALU_DEP_1) | instskip(NEXT) | instid1(VALU_DEP_1)
	v_and_b32_e32 v7, 0xff, v3
	v_cmp_ne_u32_e32 vcc_lo, 0, v7
	s_and_b32 s13, vcc_lo, exec_lo
	s_delay_alu instid0(SALU_CYCLE_1)
	s_or_b32 s9, s9, s13
	s_or_b32 exec_lo, exec_lo, s12
	v_mov_b32_e32 v3, 0
	s_and_saveexec_b32 s12, s9
	s_cbranch_execnz .LBB4_116
	s_branch .LBB4_117
.LBB4_190:                              ;   in Loop: Header=BB4_81 Depth=1
	v_bfe_u32 v4, v6, 20, 1
	s_mov_b32 s9, exec_lo
	s_delay_alu instid0(VALU_DEP_1) | instskip(NEXT) | instid1(VALU_DEP_1)
	v_add3_u32 v4, v6, v4, 0x487ffff
	v_bfe_u32 v7, v4, 20, 8
	s_and_not1_saveexec_b32 s12, s12
	s_cbranch_execz .LBB4_121
.LBB4_191:                              ;   in Loop: Header=BB4_81 Depth=1
	v_add_f32_e64 v4, 0x46000000, |v6|
	s_and_not1_b32 s9, s9, exec_lo
	s_delay_alu instid0(VALU_DEP_1) | instskip(NEXT) | instid1(VALU_DEP_1)
	v_and_b32_e32 v7, 0xff, v4
	v_cmp_ne_u32_e32 vcc_lo, 0, v7
	s_and_b32 s13, vcc_lo, exec_lo
	s_delay_alu instid0(SALU_CYCLE_1)
	s_or_b32 s9, s9, s13
	s_or_b32 exec_lo, exec_lo, s12
	v_mov_b32_e32 v4, 0
	s_and_saveexec_b32 s12, s9
	s_cbranch_execnz .LBB4_122
	s_branch .LBB4_123
.LBB4_192:                              ;   in Loop: Header=BB4_81 Depth=1
	v_bfe_u32 v6, v5, 20, 1
	s_mov_b32 s9, exec_lo
	s_delay_alu instid0(VALU_DEP_1) | instskip(NEXT) | instid1(VALU_DEP_1)
	v_add3_u32 v6, v5, v6, 0x487ffff
	v_bfe_u32 v6, v6, 20, 8
	s_and_not1_saveexec_b32 s12, s12
	s_cbranch_execz .LBB4_127
.LBB4_193:                              ;   in Loop: Header=BB4_81 Depth=1
	v_add_f32_e64 v6, 0x46000000, |v5|
	s_and_not1_b32 s9, s9, exec_lo
	s_delay_alu instid0(VALU_DEP_1) | instskip(NEXT) | instid1(VALU_DEP_1)
	v_and_b32_e32 v6, 0xff, v6
	v_cmp_ne_u32_e32 vcc_lo, 0, v6
	s_and_b32 s13, vcc_lo, exec_lo
	s_delay_alu instid0(SALU_CYCLE_1)
	s_or_b32 s9, s9, s13
	s_or_b32 exec_lo, exec_lo, s12
	v_mov_b32_e32 v7, 0
	s_and_saveexec_b32 s12, s9
	s_cbranch_execnz .LBB4_128
	s_branch .LBB4_129
.LBB4_194:                              ;   in Loop: Header=BB4_81 Depth=1
	v_bfe_u32 v2, v6, 20, 1
	s_mov_b32 s12, exec_lo
	s_delay_alu instid0(VALU_DEP_1) | instskip(NEXT) | instid1(VALU_DEP_1)
	v_add3_u32 v2, v6, v2, 0x487ffff
	v_bfe_u32 v11, v2, 20, 8
	s_and_not1_saveexec_b32 s13, s13
	s_cbranch_execz .LBB4_134
.LBB4_195:                              ;   in Loop: Header=BB4_81 Depth=1
	v_add_f32_e64 v2, 0x46000000, |v6|
	s_and_not1_b32 s12, s12, exec_lo
	s_delay_alu instid0(VALU_DEP_1) | instskip(NEXT) | instid1(VALU_DEP_1)
	v_and_b32_e32 v11, 0xff, v2
	v_cmp_ne_u32_e32 vcc_lo, 0, v11
	s_and_b32 s14, vcc_lo, exec_lo
	s_delay_alu instid0(SALU_CYCLE_1)
	s_or_b32 s12, s12, s14
	s_or_b32 exec_lo, exec_lo, s13
	v_mov_b32_e32 v2, 0
	s_and_saveexec_b32 s13, s12
	s_cbranch_execnz .LBB4_135
	s_branch .LBB4_136
.LBB4_196:                              ;   in Loop: Header=BB4_81 Depth=1
	v_bfe_u32 v3, v6, 20, 1
	s_mov_b32 s12, exec_lo
	s_delay_alu instid0(VALU_DEP_1) | instskip(NEXT) | instid1(VALU_DEP_1)
	v_add3_u32 v3, v6, v3, 0x487ffff
	v_bfe_u32 v7, v3, 20, 8
	s_and_not1_saveexec_b32 s13, s13
	s_cbranch_execz .LBB4_140
.LBB4_197:                              ;   in Loop: Header=BB4_81 Depth=1
	v_add_f32_e64 v3, 0x46000000, |v6|
	s_and_not1_b32 s12, s12, exec_lo
	s_delay_alu instid0(VALU_DEP_1) | instskip(NEXT) | instid1(VALU_DEP_1)
	v_and_b32_e32 v7, 0xff, v3
	v_cmp_ne_u32_e32 vcc_lo, 0, v7
	s_and_b32 s14, vcc_lo, exec_lo
	s_delay_alu instid0(SALU_CYCLE_1)
	s_or_b32 s12, s12, s14
	s_or_b32 exec_lo, exec_lo, s13
	v_mov_b32_e32 v3, 0
	s_and_saveexec_b32 s13, s12
	s_cbranch_execnz .LBB4_141
	s_branch .LBB4_142
.LBB4_198:                              ;   in Loop: Header=BB4_81 Depth=1
	v_bfe_u32 v4, v6, 20, 1
	s_mov_b32 s12, exec_lo
	s_delay_alu instid0(VALU_DEP_1) | instskip(NEXT) | instid1(VALU_DEP_1)
	v_add3_u32 v4, v6, v4, 0x487ffff
	v_bfe_u32 v7, v4, 20, 8
	s_and_not1_saveexec_b32 s13, s13
	s_cbranch_execz .LBB4_146
.LBB4_199:                              ;   in Loop: Header=BB4_81 Depth=1
	v_add_f32_e64 v4, 0x46000000, |v6|
	s_and_not1_b32 s12, s12, exec_lo
	s_delay_alu instid0(VALU_DEP_1) | instskip(NEXT) | instid1(VALU_DEP_1)
	v_and_b32_e32 v7, 0xff, v4
	v_cmp_ne_u32_e32 vcc_lo, 0, v7
	s_and_b32 s14, vcc_lo, exec_lo
	s_delay_alu instid0(SALU_CYCLE_1)
	s_or_b32 s12, s12, s14
	s_or_b32 exec_lo, exec_lo, s13
	v_mov_b32_e32 v4, 0
	s_and_saveexec_b32 s13, s12
	s_cbranch_execnz .LBB4_147
	s_branch .LBB4_148
.LBB4_200:                              ;   in Loop: Header=BB4_81 Depth=1
	v_bfe_u32 v6, v5, 20, 1
	s_mov_b32 s12, exec_lo
	s_delay_alu instid0(VALU_DEP_1) | instskip(NEXT) | instid1(VALU_DEP_1)
	v_add3_u32 v6, v5, v6, 0x487ffff
	v_bfe_u32 v6, v6, 20, 8
	s_and_not1_saveexec_b32 s13, s13
	s_cbranch_execz .LBB4_152
.LBB4_201:                              ;   in Loop: Header=BB4_81 Depth=1
	v_add_f32_e64 v6, 0x46000000, |v5|
	s_and_not1_b32 s12, s12, exec_lo
	s_delay_alu instid0(VALU_DEP_1) | instskip(NEXT) | instid1(VALU_DEP_1)
	v_and_b32_e32 v6, 0xff, v6
	v_cmp_ne_u32_e32 vcc_lo, 0, v6
	s_and_b32 s14, vcc_lo, exec_lo
	s_delay_alu instid0(SALU_CYCLE_1)
	s_or_b32 s12, s12, s14
	s_or_b32 exec_lo, exec_lo, s13
	v_mov_b32_e32 v7, 0
	s_and_saveexec_b32 s13, s12
	s_cbranch_execnz .LBB4_153
	s_branch .LBB4_154
.LBB4_202:                              ;   in Loop: Header=BB4_81 Depth=1
	v_bfe_u32 v2, v6, 20, 1
	s_mov_b32 s13, exec_lo
	s_delay_alu instid0(VALU_DEP_1) | instskip(NEXT) | instid1(VALU_DEP_1)
	v_add3_u32 v2, v6, v2, 0x487ffff
	v_bfe_u32 v11, v2, 20, 8
	s_and_not1_saveexec_b32 s14, s14
	s_cbranch_execz .LBB4_159
.LBB4_203:                              ;   in Loop: Header=BB4_81 Depth=1
	v_add_f32_e64 v2, 0x46000000, |v6|
	s_and_not1_b32 s13, s13, exec_lo
	s_delay_alu instid0(VALU_DEP_1) | instskip(NEXT) | instid1(VALU_DEP_1)
	v_and_b32_e32 v11, 0xff, v2
	v_cmp_ne_u32_e32 vcc_lo, 0, v11
	s_and_b32 s15, vcc_lo, exec_lo
	s_delay_alu instid0(SALU_CYCLE_1)
	s_or_b32 s13, s13, s15
	s_or_b32 exec_lo, exec_lo, s14
	v_mov_b32_e32 v2, 0
	s_and_saveexec_b32 s14, s13
	s_cbranch_execnz .LBB4_160
	s_branch .LBB4_161
.LBB4_204:                              ;   in Loop: Header=BB4_81 Depth=1
	v_bfe_u32 v3, v6, 20, 1
	s_mov_b32 s13, exec_lo
	s_delay_alu instid0(VALU_DEP_1) | instskip(NEXT) | instid1(VALU_DEP_1)
	v_add3_u32 v3, v6, v3, 0x487ffff
	v_bfe_u32 v7, v3, 20, 8
	s_and_not1_saveexec_b32 s14, s14
	s_cbranch_execz .LBB4_165
.LBB4_205:                              ;   in Loop: Header=BB4_81 Depth=1
	v_add_f32_e64 v3, 0x46000000, |v6|
	s_and_not1_b32 s13, s13, exec_lo
	s_delay_alu instid0(VALU_DEP_1) | instskip(NEXT) | instid1(VALU_DEP_1)
	v_and_b32_e32 v7, 0xff, v3
	v_cmp_ne_u32_e32 vcc_lo, 0, v7
	s_and_b32 s15, vcc_lo, exec_lo
	s_delay_alu instid0(SALU_CYCLE_1)
	s_or_b32 s13, s13, s15
	s_or_b32 exec_lo, exec_lo, s14
	v_mov_b32_e32 v3, 0
	s_and_saveexec_b32 s14, s13
	s_cbranch_execnz .LBB4_166
	s_branch .LBB4_167
.LBB4_206:                              ;   in Loop: Header=BB4_81 Depth=1
	v_bfe_u32 v4, v6, 20, 1
	s_mov_b32 s13, exec_lo
	s_delay_alu instid0(VALU_DEP_1) | instskip(NEXT) | instid1(VALU_DEP_1)
	v_add3_u32 v4, v6, v4, 0x487ffff
	v_bfe_u32 v7, v4, 20, 8
	s_and_not1_saveexec_b32 s14, s14
	s_cbranch_execz .LBB4_171
.LBB4_207:                              ;   in Loop: Header=BB4_81 Depth=1
	v_add_f32_e64 v4, 0x46000000, |v6|
	s_and_not1_b32 s13, s13, exec_lo
	s_delay_alu instid0(VALU_DEP_1) | instskip(NEXT) | instid1(VALU_DEP_1)
	v_and_b32_e32 v7, 0xff, v4
	v_cmp_ne_u32_e32 vcc_lo, 0, v7
	s_and_b32 s15, vcc_lo, exec_lo
	s_delay_alu instid0(SALU_CYCLE_1)
	s_or_b32 s13, s13, s15
	s_or_b32 exec_lo, exec_lo, s14
	v_mov_b32_e32 v4, 0
	s_and_saveexec_b32 s14, s13
	s_cbranch_execnz .LBB4_172
	s_branch .LBB4_173
.LBB4_208:                              ;   in Loop: Header=BB4_81 Depth=1
	v_bfe_u32 v6, v5, 20, 1
	s_mov_b32 s13, exec_lo
	s_delay_alu instid0(VALU_DEP_1) | instskip(NEXT) | instid1(VALU_DEP_1)
	v_add3_u32 v6, v5, v6, 0x487ffff
	v_bfe_u32 v6, v6, 20, 8
	s_and_not1_saveexec_b32 s14, s14
	s_cbranch_execz .LBB4_177
.LBB4_209:                              ;   in Loop: Header=BB4_81 Depth=1
	v_add_f32_e64 v6, 0x46000000, |v5|
	s_and_not1_b32 s13, s13, exec_lo
	s_delay_alu instid0(VALU_DEP_1) | instskip(NEXT) | instid1(VALU_DEP_1)
	v_and_b32_e32 v6, 0xff, v6
	v_cmp_ne_u32_e32 vcc_lo, 0, v6
	s_and_b32 s15, vcc_lo, exec_lo
	s_delay_alu instid0(SALU_CYCLE_1)
	s_or_b32 s13, s13, s15
	s_or_b32 exec_lo, exec_lo, s14
	v_mov_b32_e32 v7, 0
	s_and_saveexec_b32 s14, s13
	s_cbranch_execz .LBB4_76
.LBB4_210:                              ;   in Loop: Header=BB4_81 Depth=1
	v_and_b32_e32 v5, 0x80000000, v5
	s_delay_alu instid0(VALU_DEP_1)
	v_lshl_or_b32 v7, v6, 24, v5
	s_branch .LBB4_76
.LBB4_211:
	s_endpgm
	.section	.rodata,"a",@progbits
	.p2align	6, 0x0
	.amdhsa_kernel _ZN4vllm39rms_norm_dynamic_per_token_quant_kernelIfN3c1015Float8_e4m3fnuzELb0EEEvPT0_PfPKT_S8_PKffiPS6_
		.amdhsa_group_segment_fixed_size 272
		.amdhsa_private_segment_fixed_size 0
		.amdhsa_kernarg_size 312
		.amdhsa_user_sgpr_count 2
		.amdhsa_user_sgpr_dispatch_ptr 0
		.amdhsa_user_sgpr_queue_ptr 0
		.amdhsa_user_sgpr_kernarg_segment_ptr 1
		.amdhsa_user_sgpr_dispatch_id 0
		.amdhsa_user_sgpr_kernarg_preload_length 0
		.amdhsa_user_sgpr_kernarg_preload_offset 0
		.amdhsa_user_sgpr_private_segment_size 0
		.amdhsa_wavefront_size32 1
		.amdhsa_uses_dynamic_stack 0
		.amdhsa_enable_private_segment 0
		.amdhsa_system_sgpr_workgroup_id_x 1
		.amdhsa_system_sgpr_workgroup_id_y 0
		.amdhsa_system_sgpr_workgroup_id_z 0
		.amdhsa_system_sgpr_workgroup_info 0
		.amdhsa_system_vgpr_workitem_id 0
		.amdhsa_next_free_vgpr 24
		.amdhsa_next_free_sgpr 37
		.amdhsa_named_barrier_count 0
		.amdhsa_reserve_vcc 1
		.amdhsa_float_round_mode_32 0
		.amdhsa_float_round_mode_16_64 0
		.amdhsa_float_denorm_mode_32 3
		.amdhsa_float_denorm_mode_16_64 3
		.amdhsa_fp16_overflow 0
		.amdhsa_memory_ordered 1
		.amdhsa_forward_progress 1
		.amdhsa_inst_pref_size 93
		.amdhsa_round_robin_scheduling 0
		.amdhsa_exception_fp_ieee_invalid_op 0
		.amdhsa_exception_fp_denorm_src 0
		.amdhsa_exception_fp_ieee_div_zero 0
		.amdhsa_exception_fp_ieee_overflow 0
		.amdhsa_exception_fp_ieee_underflow 0
		.amdhsa_exception_fp_ieee_inexact 0
		.amdhsa_exception_int_div_zero 0
	.end_amdhsa_kernel
	.section	.text._ZN4vllm39rms_norm_dynamic_per_token_quant_kernelIfN3c1015Float8_e4m3fnuzELb0EEEvPT0_PfPKT_S8_PKffiPS6_,"axG",@progbits,_ZN4vllm39rms_norm_dynamic_per_token_quant_kernelIfN3c1015Float8_e4m3fnuzELb0EEEvPT0_PfPKT_S8_PKffiPS6_,comdat
.Lfunc_end4:
	.size	_ZN4vllm39rms_norm_dynamic_per_token_quant_kernelIfN3c1015Float8_e4m3fnuzELb0EEEvPT0_PfPKT_S8_PKffiPS6_, .Lfunc_end4-_ZN4vllm39rms_norm_dynamic_per_token_quant_kernelIfN3c1015Float8_e4m3fnuzELb0EEEvPT0_PfPKT_S8_PKffiPS6_
                                        ; -- End function
	.set _ZN4vllm39rms_norm_dynamic_per_token_quant_kernelIfN3c1015Float8_e4m3fnuzELb0EEEvPT0_PfPKT_S8_PKffiPS6_.num_vgpr, 24
	.set _ZN4vllm39rms_norm_dynamic_per_token_quant_kernelIfN3c1015Float8_e4m3fnuzELb0EEEvPT0_PfPKT_S8_PKffiPS6_.num_agpr, 0
	.set _ZN4vllm39rms_norm_dynamic_per_token_quant_kernelIfN3c1015Float8_e4m3fnuzELb0EEEvPT0_PfPKT_S8_PKffiPS6_.numbered_sgpr, 37
	.set _ZN4vllm39rms_norm_dynamic_per_token_quant_kernelIfN3c1015Float8_e4m3fnuzELb0EEEvPT0_PfPKT_S8_PKffiPS6_.num_named_barrier, 0
	.set _ZN4vllm39rms_norm_dynamic_per_token_quant_kernelIfN3c1015Float8_e4m3fnuzELb0EEEvPT0_PfPKT_S8_PKffiPS6_.private_seg_size, 0
	.set _ZN4vllm39rms_norm_dynamic_per_token_quant_kernelIfN3c1015Float8_e4m3fnuzELb0EEEvPT0_PfPKT_S8_PKffiPS6_.uses_vcc, 1
	.set _ZN4vllm39rms_norm_dynamic_per_token_quant_kernelIfN3c1015Float8_e4m3fnuzELb0EEEvPT0_PfPKT_S8_PKffiPS6_.uses_flat_scratch, 0
	.set _ZN4vllm39rms_norm_dynamic_per_token_quant_kernelIfN3c1015Float8_e4m3fnuzELb0EEEvPT0_PfPKT_S8_PKffiPS6_.has_dyn_sized_stack, 0
	.set _ZN4vllm39rms_norm_dynamic_per_token_quant_kernelIfN3c1015Float8_e4m3fnuzELb0EEEvPT0_PfPKT_S8_PKffiPS6_.has_recursion, 0
	.set _ZN4vllm39rms_norm_dynamic_per_token_quant_kernelIfN3c1015Float8_e4m3fnuzELb0EEEvPT0_PfPKT_S8_PKffiPS6_.has_indirect_call, 0
	.section	.AMDGPU.csdata,"",@progbits
; Kernel info:
; codeLenInByte = 11808
; TotalNumSgprs: 39
; NumVgprs: 24
; ScratchSize: 0
; MemoryBound: 0
; FloatMode: 240
; IeeeMode: 1
; LDSByteSize: 272 bytes/workgroup (compile time only)
; SGPRBlocks: 0
; VGPRBlocks: 1
; NumSGPRsForWavesPerEU: 39
; NumVGPRsForWavesPerEU: 24
; NamedBarCnt: 0
; Occupancy: 16
; WaveLimiterHint : 0
; COMPUTE_PGM_RSRC2:SCRATCH_EN: 0
; COMPUTE_PGM_RSRC2:USER_SGPR: 2
; COMPUTE_PGM_RSRC2:TRAP_HANDLER: 0
; COMPUTE_PGM_RSRC2:TGID_X_EN: 1
; COMPUTE_PGM_RSRC2:TGID_Y_EN: 0
; COMPUTE_PGM_RSRC2:TGID_Z_EN: 0
; COMPUTE_PGM_RSRC2:TIDIG_COMP_CNT: 0
	.section	.text._ZN4vllm39rms_norm_dynamic_per_token_quant_kernelIfaLb0EEEvPT0_PfPKT_S6_PKffiPS4_,"axG",@progbits,_ZN4vllm39rms_norm_dynamic_per_token_quant_kernelIfaLb0EEEvPT0_PfPKT_S6_PKffiPS4_,comdat
	.protected	_ZN4vllm39rms_norm_dynamic_per_token_quant_kernelIfaLb0EEEvPT0_PfPKT_S6_PKffiPS4_ ; -- Begin function _ZN4vllm39rms_norm_dynamic_per_token_quant_kernelIfaLb0EEEvPT0_PfPKT_S6_PKffiPS4_
	.globl	_ZN4vllm39rms_norm_dynamic_per_token_quant_kernelIfaLb0EEEvPT0_PfPKT_S6_PKffiPS4_
	.p2align	8
	.type	_ZN4vllm39rms_norm_dynamic_per_token_quant_kernelIfaLb0EEEvPT0_PfPKT_S6_PKffiPS4_,@function
_ZN4vllm39rms_norm_dynamic_per_token_quant_kernelIfaLb0EEEvPT0_PfPKT_S6_PKffiPS4_: ; @_ZN4vllm39rms_norm_dynamic_per_token_quant_kernelIfaLb0EEEvPT0_PfPKT_S6_PKffiPS4_
; %bb.0:
	s_clause 0x1
	s_load_b128 s[20:23], s[0:1], 0x20
	s_load_b256 s[12:19], s[0:1], 0x0
	s_getreg_b32 s26, hwreg(HW_REG_IB_STS2, 6, 4)
	s_wait_kmcnt 0x0
	s_and_b32 s2, s23, 3
	s_delay_alu instid0(SALU_CYCLE_1)
	s_cmp_lg_u32 s2, 0
	s_cbranch_scc0 .LBB5_31
; %bb.1:
	s_bfe_u32 s2, ttmp6, 0x4000c
	s_and_b32 s3, ttmp6, 15
	s_add_co_i32 s2, s2, 1
	s_delay_alu instid0(SALU_CYCLE_1)
	s_mul_i32 s4, ttmp9, s2
	v_cmp_gt_u32_e64 s2, s23, v0
	s_add_co_i32 s4, s3, s4
	v_cmp_le_u32_e64 s3, s23, v0
	s_cmp_eq_u32 s26, 0
	s_cselect_b32 s24, ttmp9, s4
                                        ; implicit-def: $sgpr4_sgpr5
	s_and_saveexec_b32 s6, s3
	s_delay_alu instid0(SALU_CYCLE_1)
	s_xor_b32 s6, exec_lo, s6
; %bb.2:
	s_add_nc_u64 s[4:5], s[0:1], 56
; %bb.3:
	s_or_saveexec_b32 s8, s6
	v_mov_b64_e32 v[2:3], s[4:5]
	v_mov_b32_e32 v4, 0
	s_xor_b32 exec_lo, exec_lo, s8
	s_cbranch_execz .LBB5_7
; %bb.4:
	s_load_b32 s9, s[0:1], 0x44
	s_ashr_i32 s5, s23, 31
	s_mov_b32 s4, s23
	s_mov_b32 s25, 0
	v_dual_mov_b32 v4, 0 :: v_dual_mov_b32 v1, v0
	s_mul_u64 s[4:5], s[4:5], s[24:25]
	s_delay_alu instid0(SALU_CYCLE_1) | instskip(NEXT) | instid1(SALU_CYCLE_1)
	s_lshl_b64 s[4:5], s[4:5], 2
	s_add_nc_u64 s[6:7], s[16:17], s[4:5]
	s_add_nc_u64 s[4:5], s[0:1], 56
	s_wait_kmcnt 0x0
	s_and_b32 s9, s9, 0xffff
.LBB5_5:                                ; =>This Inner Loop Header: Depth=1
	global_load_b32 v2, v1, s[6:7] scale_offset
	s_wait_loadcnt 0x0
	v_dual_fmac_f32 v4, v2, v2 :: v_dual_add_nc_u32 v1, s9, v1
	s_delay_alu instid0(VALU_DEP_1) | instskip(SKIP_1) | instid1(SALU_CYCLE_1)
	v_cmp_le_u32_e32 vcc_lo, s23, v1
	s_or_b32 s25, vcc_lo, s25
	s_and_not1_b32 exec_lo, exec_lo, s25
	s_cbranch_execnz .LBB5_5
; %bb.6:
	s_or_b32 exec_lo, exec_lo, s25
	v_mov_b64_e32 v[2:3], s[4:5]
.LBB5_7:
	s_or_b32 exec_lo, exec_lo, s8
	global_load_b32 v1, v[2:3], off
	v_mov_b32_e32 v7, 0
	v_and_b32_e32 v10, 0x3c0, v0
	s_wait_loadcnt 0x0
	v_cmp_lt_u32_e32 vcc_lo, s24, v1
	v_mbcnt_lo_u32_b32 v1, -1, 0
	v_cndmask_b32_e64 v6, 18, 12, vcc_lo
	s_delay_alu instid0(VALU_DEP_2) | instskip(SKIP_2) | instid1(VALU_DEP_4)
	v_cmp_ne_u32_e32 vcc_lo, 63, v1
	v_cmp_eq_u32_e64 s4, 0, v1
	v_dual_add_nc_u32 v13, 2, v1 :: v_dual_add_nc_u32 v15, 4, v1
	v_add_nc_u64_e32 v[2:3], v[2:3], v[6:7]
	v_dual_add_nc_u32 v18, 8, v1 :: v_dual_add_nc_u32 v17, 16, v1
	v_dual_lshlrev_b32 v7, 2, v1 :: v_dual_bitop2_b32 v19, 32, v1 bitop3:0x54
	global_load_u16 v2, v[2:3], off
	s_wait_xcnt 0x0
	v_add_co_ci_u32_e64 v3, null, 0, v1, vcc_lo
	v_cmp_gt_u32_e32 vcc_lo, 62, v1
	s_delay_alu instid0(VALU_DEP_2)
	v_lshlrev_b32_e32 v9, 2, v3
	v_cndmask_b32_e64 v5, 0, 2, vcc_lo
	ds_bpermute_b32 v3, v9, v4
	v_add_nc_u32_e32 v8, 1, v1
	v_add_lshl_u32 v11, v5, v1, 2
	s_wait_dscnt 0x0
	v_add_f32_e32 v3, v4, v3
	s_wait_loadcnt 0x0
	v_sub_nc_u32_e64 v6, v2, v10 clamp
	s_delay_alu instid0(VALU_DEP_1) | instskip(NEXT) | instid1(VALU_DEP_3)
	v_cmp_lt_u32_e32 vcc_lo, v8, v6
	v_cndmask_b32_e32 v3, v4, v3, vcc_lo
	v_cmp_gt_u32_e32 vcc_lo, 60, v1
	ds_bpermute_b32 v4, v11, v3
	v_cndmask_b32_e64 v5, 0, 4, vcc_lo
	v_cmp_lt_u32_e32 vcc_lo, v13, v6
	s_delay_alu instid0(VALU_DEP_2) | instskip(SKIP_2) | instid1(VALU_DEP_1)
	v_add_lshl_u32 v12, v5, v1, 2
	s_wait_dscnt 0x0
	v_add_f32_e32 v4, v3, v4
	v_cndmask_b32_e32 v3, v3, v4, vcc_lo
	v_cmp_gt_u32_e32 vcc_lo, 56, v1
	ds_bpermute_b32 v4, v12, v3
	v_cndmask_b32_e64 v5, 0, 8, vcc_lo
	v_cmp_lt_u32_e32 vcc_lo, v15, v6
	s_delay_alu instid0(VALU_DEP_2) | instskip(SKIP_2) | instid1(VALU_DEP_1)
	v_add_lshl_u32 v14, v5, v1, 2
	s_wait_dscnt 0x0
	v_add_f32_e32 v4, v3, v4
	;; [unrolled: 9-line block ×3, first 2 shown]
	v_cndmask_b32_e32 v3, v3, v4, vcc_lo
	v_cmp_lt_u32_e32 vcc_lo, v17, v6
	ds_bpermute_b32 v4, v16, v3
	s_wait_dscnt 0x0
	v_add_f32_e32 v4, v3, v4
	s_delay_alu instid0(VALU_DEP_1) | instskip(SKIP_4) | instid1(VALU_DEP_1)
	v_cndmask_b32_e32 v3, v3, v4, vcc_lo
	v_cmp_lt_u32_e32 vcc_lo, v19, v6
	ds_bpermute_b32 v4, v7, v3 offset:128
	s_wait_dscnt 0x0
	v_add_f32_e32 v4, v3, v4
	v_cndmask_b32_e32 v3, v3, v4, vcc_lo
	s_and_saveexec_b32 s5, s4
; %bb.8:
	v_lshrrev_b32_e32 v4, 4, v0
	s_delay_alu instid0(VALU_DEP_1)
	v_and_b32_e32 v4, 60, v4
	ds_store_b32 v4, v3 offset:128
; %bb.9:
	s_or_b32 exec_lo, exec_lo, s5
	v_cmp_gt_u32_e64 s5, 16, v0
	v_and_b32_e32 v5, 15, v1
	v_or_b32_e32 v6, 32, v7
	s_wait_dscnt 0x0
	s_barrier_signal -1
	s_barrier_wait -1
	s_and_saveexec_b32 s7, s5
	s_cbranch_execz .LBB5_11
; %bb.10:
	ds_load_b32 v3, v7 offset:128
	v_cmp_ne_u32_e32 vcc_lo, 15, v5
	v_cmp_gt_u32_e64 s6, 12, v5
	v_dual_add_nc_u32 v2, 63, v2 :: v_dual_add_nc_u32 v20, 1, v5
	v_add_co_ci_u32_e64 v4, null, 0, v1, vcc_lo
	v_cmp_gt_u32_e32 vcc_lo, 14, v5
	s_delay_alu instid0(VALU_DEP_4) | instskip(NEXT) | instid1(VALU_DEP_3)
	v_cndmask_b32_e64 v22, 0, 4, s6
	v_dual_lshrrev_b32 v2, 6, v2 :: v_dual_lshlrev_b32 v4, 2, v4
	v_cndmask_b32_e64 v21, 0, 2, vcc_lo
	s_delay_alu instid0(VALU_DEP_2) | instskip(NEXT) | instid1(VALU_DEP_2)
	v_cmp_lt_u32_e32 vcc_lo, v20, v2
	v_add_lshl_u32 v21, v21, v1, 2
	s_wait_dscnt 0x0
	ds_bpermute_b32 v4, v4, v3
	s_wait_dscnt 0x0
	v_add_f32_e32 v4, v3, v4
	s_delay_alu instid0(VALU_DEP_1) | instskip(SKIP_2) | instid1(VALU_DEP_1)
	v_cndmask_b32_e32 v4, v3, v4, vcc_lo
	ds_bpermute_b32 v20, v21, v4
	v_add_nc_u32_e32 v21, 2, v5
	v_cmp_lt_u32_e64 s6, v21, v2
	s_wait_dscnt 0x0
	v_dual_add_f32 v20, v4, v20 :: v_dual_add_nc_u32 v21, 4, v5
	s_delay_alu instid0(VALU_DEP_1) | instskip(SKIP_1) | instid1(VALU_DEP_3)
	v_cndmask_b32_e64 v4, v4, v20, s6
	v_add_lshl_u32 v20, v22, v1, 2
	v_cmp_lt_u32_e64 s6, v21, v2
	v_add_nc_u32_e32 v21, 8, v5
	ds_bpermute_b32 v20, v20, v4
	s_wait_dscnt 0x0
	v_add_f32_e32 v20, v4, v20
	s_delay_alu instid0(VALU_DEP_1) | instskip(SKIP_4) | instid1(VALU_DEP_1)
	v_cndmask_b32_e64 v4, v4, v20, s6
	v_cmp_lt_u32_e64 s6, v21, v2
	ds_bpermute_b32 v20, v6, v4
	s_wait_dscnt 0x0
	v_add_f32_e32 v20, v4, v20
	v_cndmask_b32_e64 v2, v4, v20, s6
	s_delay_alu instid0(VALU_DEP_1)
	v_cndmask_b32_e32 v3, v3, v2, vcc_lo
.LBB5_11:
	s_or_b32 exec_lo, exec_lo, s7
	v_cmp_eq_u32_e64 s6, 0, v0
	s_mov_b32 s25, 0
	s_and_saveexec_b32 s7, s6
	s_cbranch_execz .LBB5_13
; %bb.12:
	s_cvt_f32_i32 s8, s23
	s_delay_alu instid0(SALU_CYCLE_3) | instskip(SKIP_1) | instid1(VALU_DEP_2)
	v_div_scale_f32 v2, null, s8, s8, v3
	v_div_scale_f32 v21, vcc_lo, v3, s8, v3
	v_rcp_f32_e32 v4, v2
	v_nop
	s_delay_alu instid0(TRANS32_DEP_1) | instskip(NEXT) | instid1(VALU_DEP_1)
	v_fma_f32 v20, -v2, v4, 1.0
	v_fmac_f32_e32 v4, v20, v4
	s_delay_alu instid0(VALU_DEP_1) | instskip(NEXT) | instid1(VALU_DEP_1)
	v_mul_f32_e32 v20, v21, v4
	v_fma_f32 v22, -v2, v20, v21
	s_delay_alu instid0(VALU_DEP_1) | instskip(NEXT) | instid1(VALU_DEP_1)
	v_fmac_f32_e32 v20, v22, v4
	v_fma_f32 v2, -v2, v20, v21
	s_delay_alu instid0(VALU_DEP_1) | instskip(NEXT) | instid1(VALU_DEP_1)
	v_div_fmas_f32 v2, v2, v4, v20
	v_div_fixup_f32 v2, v2, s8, v3
	s_delay_alu instid0(VALU_DEP_1) | instskip(NEXT) | instid1(VALU_DEP_1)
	v_add_f32_e32 v2, s22, v2
	v_mul_f32_e32 v3, 0x4b800000, v2
	v_cmp_gt_f32_e32 vcc_lo, 0x800000, v2
	s_delay_alu instid0(VALU_DEP_2) | instskip(NEXT) | instid1(VALU_DEP_1)
	v_cndmask_b32_e32 v2, v2, v3, vcc_lo
	v_rsq_f32_e32 v2, v2
	v_nop
	s_delay_alu instid0(TRANS32_DEP_1) | instskip(NEXT) | instid1(VALU_DEP_1)
	v_mul_f32_e32 v3, 0x45800000, v2
	v_dual_cndmask_b32 v2, v2, v3 :: v_dual_mov_b32 v3, 0
	ds_store_b32 v3, v2 offset:264
.LBB5_13:
	s_or_b32 exec_lo, exec_lo, s7
	v_mov_b32_e32 v20, 0
	s_wait_dscnt 0x0
	s_barrier_signal -1
	s_barrier_wait -1
	ds_load_b32 v4, v20 offset:264
                                        ; implicit-def: $sgpr8_sgpr9
	s_and_saveexec_b32 s7, s3
	s_delay_alu instid0(SALU_CYCLE_1)
	s_xor_b32 s3, exec_lo, s7
; %bb.14:
	s_add_nc_u64 s[8:9], s[0:1], 56
; %bb.15:
	s_or_saveexec_b32 s3, s3
	v_mov_b64_e32 v[2:3], s[8:9]
	s_xor_b32 exec_lo, exec_lo, s3
	s_cbranch_execz .LBB5_19
; %bb.16:
	s_load_b32 s7, s[0:1], 0x44
	s_ashr_i32 s11, s23, 31
	s_mov_b32 s10, s23
	v_dual_mov_b32 v20, 0 :: v_dual_mov_b32 v2, v0
	s_mul_u64 s[10:11], s[10:11], s[24:25]
	s_add_nc_u64 s[8:9], s[0:1], 56
	s_lshl_b64 s[10:11], s[10:11], 2
	s_delay_alu instid0(SALU_CYCLE_1)
	s_add_nc_u64 s[10:11], s[16:17], s[10:11]
	s_wait_kmcnt 0x0
	s_and_b32 s27, s7, 0xffff
	s_mov_b32 s7, 0
.LBB5_17:                               ; =>This Inner Loop Header: Depth=1
	s_clause 0x1
	global_load_b32 v3, v2, s[10:11] scale_offset
	global_load_b32 v21, v2, s[18:19] scale_offset
	s_wait_xcnt 0x0
	v_add_nc_u32_e32 v2, s27, v2
	s_delay_alu instid0(VALU_DEP_1) | instskip(SKIP_4) | instid1(VALU_DEP_1)
	v_cmp_le_u32_e32 vcc_lo, s23, v2
	s_or_b32 s7, vcc_lo, s7
	s_wait_loadcnt_dscnt 0x100
	v_mul_f32_e32 v3, v4, v3
	s_wait_loadcnt 0x0
	v_dual_max_num_f32 v20, v20, v20 :: v_dual_mul_f32 v3, v3, v21
	s_delay_alu instid0(VALU_DEP_1)
	v_max_num_f32_e64 v20, v20, |v3|
	s_and_not1_b32 exec_lo, exec_lo, s7
	s_cbranch_execnz .LBB5_17
; %bb.18:
	s_or_b32 exec_lo, exec_lo, s7
	v_mov_b64_e32 v[2:3], s[8:9]
.LBB5_19:
	s_or_b32 exec_lo, exec_lo, s3
	global_load_b32 v22, v[2:3], off
	v_mov_b32_e32 v23, 0
	v_or_b32_e32 v21, 0x80, v7
	s_wait_loadcnt 0x0
	v_cmp_lt_u32_e32 vcc_lo, s24, v22
	v_cndmask_b32_e64 v22, 18, 12, vcc_lo
	s_delay_alu instid0(VALU_DEP_1)
	v_add_nc_u64_e32 v[2:3], v[2:3], v[22:23]
	global_load_u16 v2, v[2:3], off
	s_wait_xcnt 0x0
	ds_bpermute_b32 v3, v9, v20
	s_wait_dscnt 0x0
	v_cmp_lt_f32_e32 vcc_lo, v20, v3
	v_cndmask_b32_e32 v3, v20, v3, vcc_lo
	s_wait_loadcnt 0x0
	v_sub_nc_u32_e64 v9, v2, v10 clamp
	s_delay_alu instid0(VALU_DEP_1)
	v_cmp_lt_u32_e32 vcc_lo, v8, v9
	v_cmp_lt_u32_e64 s10, v19, v9
	v_cndmask_b32_e32 v3, v20, v3, vcc_lo
	ds_bpermute_b32 v8, v11, v3
	s_wait_dscnt 0x0
	v_cmp_lt_f32_e64 s3, v3, v8
	s_delay_alu instid0(VALU_DEP_1) | instskip(SKIP_1) | instid1(VALU_DEP_1)
	v_cndmask_b32_e64 v8, v3, v8, s3
	v_cmp_lt_u32_e64 s3, v13, v9
	v_cndmask_b32_e64 v3, v3, v8, s3
	s_or_b32 s3, vcc_lo, s3
	ds_bpermute_b32 v8, v12, v3
	s_wait_dscnt 0x0
	v_cmp_lt_f32_e64 s7, v3, v8
	s_delay_alu instid0(VALU_DEP_1) | instskip(SKIP_1) | instid1(VALU_DEP_1)
	v_cndmask_b32_e64 v8, v3, v8, s7
	v_cmp_lt_u32_e64 s7, v15, v9
	v_cndmask_b32_e64 v3, v3, v8, s7
	s_or_b32 s3, s7, s3
	ds_bpermute_b32 v8, v14, v3
	s_wait_dscnt 0x0
	v_cmp_lt_f32_e64 s8, v3, v8
	s_delay_alu instid0(VALU_DEP_1) | instskip(SKIP_1) | instid1(VALU_DEP_1)
	v_cndmask_b32_e64 v8, v3, v8, s8
	v_cmp_lt_u32_e64 s8, v18, v9
	v_cndmask_b32_e64 v3, v3, v8, s8
	s_or_b32 s3, s8, s3
	;; [unrolled: 8-line block ×3, first 2 shown]
	ds_bpermute_b32 v8, v21, v3
	s_wait_dscnt 0x0
	v_cmp_lt_f32_e32 vcc_lo, v3, v8
	s_and_b32 vcc_lo, s10, vcc_lo
	v_cndmask_b32_e32 v3, v3, v8, vcc_lo
	s_or_b32 vcc_lo, s10, s3
	s_delay_alu instid0(VALU_DEP_1)
	v_cndmask_b32_e32 v3, v20, v3, vcc_lo
	s_and_saveexec_b32 s3, s4
; %bb.20:
	v_lshrrev_b32_e32 v8, 4, v0
	s_delay_alu instid0(VALU_DEP_1)
	v_and_b32_e32 v8, 60, v8
	ds_store_b32 v8, v3 offset:192
; %bb.21:
	s_or_b32 exec_lo, exec_lo, s3
	s_wait_dscnt 0x0
	s_barrier_signal -1
	s_barrier_wait -1
	s_and_saveexec_b32 s7, s5
	s_cbranch_execz .LBB5_23
; %bb.22:
	ds_load_b32 v3, v7 offset:192
	v_cmp_ne_u32_e32 vcc_lo, 15, v5
	v_cmp_gt_u32_e64 s3, 12, v5
	v_dual_add_nc_u32 v2, 63, v2 :: v_dual_add_nc_u32 v8, 1, v5
	v_add_co_ci_u32_e64 v7, null, 0, v1, vcc_lo
	v_cmp_gt_u32_e32 vcc_lo, 14, v5
	s_delay_alu instid0(VALU_DEP_4) | instskip(NEXT) | instid1(VALU_DEP_3)
	v_cndmask_b32_e64 v10, 0, 4, s3
	v_dual_lshrrev_b32 v2, 6, v2 :: v_dual_lshlrev_b32 v7, 2, v7
	v_cndmask_b32_e64 v9, 0, 2, vcc_lo
	s_delay_alu instid0(VALU_DEP_1) | instskip(NEXT) | instid1(VALU_DEP_4)
	v_add_lshl_u32 v9, v9, v1, 2
	v_add_lshl_u32 v1, v10, v1, 2
	s_wait_dscnt 0x0
	ds_bpermute_b32 v7, v7, v3
	s_wait_dscnt 0x0
	v_cmp_lt_f32_e32 vcc_lo, v3, v7
	v_cndmask_b32_e32 v7, v3, v7, vcc_lo
	v_cmp_lt_u32_e32 vcc_lo, v8, v2
	s_delay_alu instid0(VALU_DEP_2) | instskip(SKIP_4) | instid1(VALU_DEP_1)
	v_cndmask_b32_e32 v7, v3, v7, vcc_lo
	ds_bpermute_b32 v8, v9, v7
	v_add_nc_u32_e32 v9, 2, v5
	s_wait_dscnt 0x0
	v_cmp_lt_f32_e64 s3, v7, v8
	v_cndmask_b32_e64 v8, v7, v8, s3
	s_delay_alu instid0(VALU_DEP_3) | instskip(NEXT) | instid1(VALU_DEP_1)
	v_cmp_lt_u32_e64 s3, v9, v2
	v_dual_cndmask_b32 v7, v7, v8, s3 :: v_dual_add_nc_u32 v8, 4, v5
	v_add_nc_u32_e32 v5, 8, v5
	ds_bpermute_b32 v1, v1, v7
	s_wait_dscnt 0x0
	v_cmp_lt_f32_e64 s3, v7, v1
	s_delay_alu instid0(VALU_DEP_1) | instskip(SKIP_1) | instid1(VALU_DEP_1)
	v_cndmask_b32_e64 v1, v7, v1, s3
	v_cmp_lt_u32_e64 s3, v8, v2
	v_cndmask_b32_e64 v1, v7, v1, s3
	v_cmp_lt_u32_e64 s3, v5, v2
	ds_bpermute_b32 v6, v6, v1
	s_wait_dscnt 0x0
	v_cmp_lt_f32_e64 s4, v1, v6
	s_and_b32 s3, s3, s4
	s_delay_alu instid0(SALU_CYCLE_1) | instskip(NEXT) | instid1(VALU_DEP_1)
	v_cndmask_b32_e64 v1, v1, v6, s3
	v_cndmask_b32_e32 v3, v3, v1, vcc_lo
.LBB5_23:
	s_or_b32 exec_lo, exec_lo, s7
	s_and_saveexec_b32 s3, s6
	s_cbranch_execz .LBB5_27
; %bb.24:
	s_cmp_eq_u64 s[20:21], 0
	s_cbranch_scc1 .LBB5_26
; %bb.25:
	s_load_b32 s4, s[20:21], 0x0
	v_max_num_f32_e32 v1, v3, v3
	s_wait_kmcnt 0x0
	v_max_num_f32_e64 v2, s4, s4
	s_delay_alu instid0(VALU_DEP_1)
	v_min_num_f32_e32 v3, v1, v2
.LBB5_26:
	s_delay_alu instid0(VALU_DEP_1)
	v_div_scale_f32 v1, null, 0x42fe0000, 0x42fe0000, v3
	v_div_scale_f32 v6, vcc_lo, v3, 0x42fe0000, v3
	s_lshl_b64 s[4:5], s[24:25], 2
	v_rcp_f32_e32 v2, v1
	s_add_nc_u64 s[4:5], s[14:15], s[4:5]
	v_nop
	s_delay_alu instid0(TRANS32_DEP_1) | instskip(NEXT) | instid1(VALU_DEP_1)
	v_fma_f32 v5, -v1, v2, 1.0
	v_fmac_f32_e32 v2, v5, v2
	s_delay_alu instid0(VALU_DEP_1) | instskip(NEXT) | instid1(VALU_DEP_1)
	v_mul_f32_e32 v5, v6, v2
	v_fma_f32 v7, -v1, v5, v6
	s_delay_alu instid0(VALU_DEP_1) | instskip(NEXT) | instid1(VALU_DEP_1)
	v_fmac_f32_e32 v5, v7, v2
	v_fma_f32 v1, -v1, v5, v6
	s_delay_alu instid0(VALU_DEP_1) | instskip(SKIP_1) | instid1(VALU_DEP_2)
	v_div_fmas_f32 v1, v1, v2, v5
	v_mov_b32_e32 v2, 0
	v_div_fixup_f32 v1, v1, 0x42fe0000, v3
	s_delay_alu instid0(VALU_DEP_1)
	v_max_num_f32_e32 v1, 0x34000000, v1
	ds_store_b32 v2, v1 offset:268
	global_store_b32 v2, v1, s[4:5]
.LBB5_27:
	s_wait_xcnt 0x0
	s_or_b32 exec_lo, exec_lo, s3
	s_wait_storecnt_dscnt 0x0
	s_barrier_signal -1
	s_barrier_wait -1
	s_and_saveexec_b32 s4, s2
	s_cbranch_execz .LBB5_30
; %bb.28:
	v_mov_b32_e32 v3, 0
	s_load_b32 s5, s[0:1], 0x44
	s_ashr_i32 s3, s23, 31
	s_mov_b32 s2, s23
	s_mov_b32 s6, 0
	ds_load_b32 v1, v3 offset:268
	s_mul_u64 s[2:3], s[2:3], s[24:25]
	s_wait_kmcnt 0x0
	s_and_b32 s5, s5, 0xffff
	s_wait_dscnt 0x0
	v_div_scale_f32 v2, null, v1, v1, 1.0
	v_div_scale_f32 v7, vcc_lo, 1.0, v1, 1.0
	s_delay_alu instid0(VALU_DEP_2)
	v_rcp_f32_e32 v5, v2
	v_nop
	v_xor_b32_e32 v2, 0x80000000, v2
	s_delay_alu instid0(TRANS32_DEP_1) | instid1(VALU_DEP_1)
	v_fma_f32 v6, v2, v5, 1.0
	s_delay_alu instid0(VALU_DEP_1) | instskip(NEXT) | instid1(VALU_DEP_1)
	v_fmac_f32_e32 v5, v6, v5
	v_mul_f32_e32 v6, v7, v5
	s_delay_alu instid0(VALU_DEP_1) | instskip(NEXT) | instid1(VALU_DEP_1)
	v_fma_f32 v8, v2, v6, v7
	v_fmac_f32_e32 v6, v8, v5
	s_delay_alu instid0(VALU_DEP_1) | instskip(NEXT) | instid1(VALU_DEP_1)
	v_fmac_f32_e32 v7, v2, v6
	v_div_fmas_f32 v2, v7, v5, v6
	s_delay_alu instid0(VALU_DEP_1)
	v_div_fixup_f32 v1, v2, v1, 1.0
	v_mov_b32_e32 v2, v0
.LBB5_29:                               ; =>This Inner Loop Header: Depth=1
	s_delay_alu instid0(VALU_DEP_1) | instskip(NEXT) | instid1(VALU_DEP_1)
	v_add_nc_u64_e32 v[6:7], s[2:3], v[2:3]
	v_lshl_add_u64 v[8:9], v[6:7], 2, s[16:17]
	v_add_nc_u64_e32 v[6:7], s[12:13], v[6:7]
	global_load_b32 v5, v[8:9], off
	global_load_b32 v10, v2, s[18:19] scale_offset
	s_wait_loadcnt 0x1
	s_wait_xcnt 0x0
	v_dual_mul_f32 v5, v4, v5 :: v_dual_add_nc_u32 v2, s5, v2
	s_wait_loadcnt 0x0
	s_delay_alu instid0(VALU_DEP_1) | instskip(NEXT) | instid1(VALU_DEP_1)
	v_mul_f32_e32 v5, v5, v10
	v_mul_f32_e32 v5, v1, v5
	s_delay_alu instid0(VALU_DEP_1) | instskip(NEXT) | instid1(VALU_DEP_1)
	v_rndne_f32_e32 v5, v5
	v_cmp_nlt_f32_e32 vcc_lo, 0x42fe0000, v5
	v_cndmask_b32_e32 v8, 0x42fe0000, v5, vcc_lo
	v_cmp_ngt_f32_e32 vcc_lo, 0xc3000000, v5
	s_delay_alu instid0(VALU_DEP_2) | instskip(SKIP_1) | instid1(VALU_DEP_2)
	v_cndmask_b32_e32 v5, 0xc3000000, v8, vcc_lo
	v_cmp_le_u32_e32 vcc_lo, s23, v2
	v_cvt_i32_f32_e32 v5, v5
	s_or_b32 s6, vcc_lo, s6
	global_store_b8 v[6:7], v5, off
	s_wait_xcnt 0x0
	s_and_not1_b32 exec_lo, exec_lo, s6
	s_cbranch_execnz .LBB5_29
.LBB5_30:
	s_or_b32 exec_lo, exec_lo, s4
	s_branch .LBB5_75
.LBB5_31:
	s_cbranch_execz .LBB5_75
; %bb.32:
	s_load_b32 s3, s[0:1], 0x38
	s_bfe_u32 s2, ttmp6, 0x4000c
	s_and_b32 s4, ttmp6, 15
	s_add_co_i32 s2, s2, 1
	s_mov_b32 s27, 0
	s_mul_i32 s2, ttmp9, s2
	v_mov_b32_e32 v1, 0
	s_add_co_i32 s4, s4, s2
	s_cmp_eq_u32 s26, 0
	s_wait_xcnt 0x0
	s_add_nc_u64 s[0:1], s[0:1], 56
	s_cselect_b32 s26, ttmp9, s4
	s_ashr_i32 s5, s23, 31
	s_mov_b32 s4, s23
	s_ashr_i32 s28, s23, 2
	s_mul_u64 s[24:25], s[4:5], s[26:27]
	v_cmp_gt_u32_e64 s2, s28, v0
	s_lshl_b64 s[4:5], s[24:25], 2
	s_delay_alu instid0(SALU_CYCLE_1)
	s_add_nc_u64 s[10:11], s[16:17], s[4:5]
	s_and_saveexec_b32 s4, s2
	s_cbranch_execz .LBB5_42
; %bb.33:
	s_wait_kmcnt 0x0
	s_cmp_lt_u32 s26, s3
	s_mov_b32 s7, s27
	s_cselect_b32 s6, 12, 18
	v_dual_mov_b32 v1, 0 :: v_dual_mov_b32 v2, v0
	s_add_nc_u64 s[6:7], s[0:1], s[6:7]
	s_mov_b32 s8, s27
	s_load_u16 s5, s[6:7], 0x0
                                        ; implicit-def: $sgpr16
	s_wait_kmcnt 0x0
	s_lshl_b32 s6, s5, 1
	s_mul_i32 s7, s5, 3
	s_add_co_i32 s9, s5, s5
	s_branch .LBB5_37
.LBB5_34:                               ;   in Loop: Header=BB5_37 Depth=1
	s_or_b32 exec_lo, exec_lo, s30
	s_delay_alu instid0(SALU_CYCLE_1)
	s_or_not1_b32 s30, s31, exec_lo
.LBB5_35:                               ;   in Loop: Header=BB5_37 Depth=1
	s_or_b32 exec_lo, exec_lo, s29
	s_delay_alu instid0(SALU_CYCLE_1) | instskip(SKIP_1) | instid1(SALU_CYCLE_1)
	s_and_not1_b32 s16, s16, exec_lo
	s_and_b32 s29, s30, exec_lo
	s_or_b32 s16, s16, s29
.LBB5_36:                               ;   in Loop: Header=BB5_37 Depth=1
	s_or_b32 exec_lo, exec_lo, s17
	s_delay_alu instid0(SALU_CYCLE_1) | instskip(NEXT) | instid1(SALU_CYCLE_1)
	s_and_b32 s17, exec_lo, s16
	s_or_b32 s8, s17, s8
	s_delay_alu instid0(SALU_CYCLE_1)
	s_and_not1_b32 exec_lo, exec_lo, s8
	s_cbranch_execz .LBB5_41
.LBB5_37:                               ; =>This Inner Loop Header: Depth=1
	global_load_b128 v[4:7], v2, s[10:11] scale_offset
	s_or_b32 s16, s16, exec_lo
	s_mov_b32 s17, exec_lo
	v_add_nc_u32_e32 v3, s5, v2
	s_wait_loadcnt 0x0
	v_pk_mul_f32 v[4:5], v[4:5], v[4:5]
	v_pk_mul_f32 v[6:7], v[6:7], v[6:7]
	s_delay_alu instid0(VALU_DEP_2) | instskip(NEXT) | instid1(VALU_DEP_1)
	v_add_f32_e32 v1, v1, v4
	v_add_f32_e32 v1, v1, v5
	s_delay_alu instid0(VALU_DEP_1) | instskip(NEXT) | instid1(VALU_DEP_1)
	v_add_f32_e32 v1, v1, v6
	v_add_f32_e32 v1, v1, v7
	s_wait_xcnt 0x0
	v_cmpx_gt_u32_e64 s28, v3
	s_cbranch_execz .LBB5_36
; %bb.38:                               ;   in Loop: Header=BB5_37 Depth=1
	global_load_b128 v[4:7], v3, s[10:11] scale_offset
	s_mov_b32 s30, -1
	s_mov_b32 s29, exec_lo
	s_wait_loadcnt 0x0
	v_pk_mul_f32 v[4:5], v[4:5], v[4:5]
	v_pk_mul_f32 v[6:7], v[6:7], v[6:7]
	s_delay_alu instid0(VALU_DEP_2) | instskip(NEXT) | instid1(VALU_DEP_1)
	v_dual_add_f32 v1, v1, v4 :: v_dual_add_nc_u32 v4, s6, v2
	v_add_f32_e32 v1, v1, v5
	s_delay_alu instid0(VALU_DEP_1) | instskip(NEXT) | instid1(VALU_DEP_1)
	v_add_f32_e32 v1, v1, v6
	v_add_f32_e32 v1, v1, v7
	s_wait_xcnt 0x0
	v_cmpx_gt_u32_e64 s28, v4
	s_cbranch_execz .LBB5_35
; %bb.39:                               ;   in Loop: Header=BB5_37 Depth=1
	global_load_b128 v[4:7], v4, s[10:11] scale_offset
	s_mov_b32 s31, -1
	s_mov_b32 s30, exec_lo
	s_wait_loadcnt 0x0
	v_pk_mul_f32 v[4:5], v[4:5], v[4:5]
	v_pk_mul_f32 v[6:7], v[6:7], v[6:7]
	s_delay_alu instid0(VALU_DEP_2) | instskip(NEXT) | instid1(VALU_DEP_1)
	v_dual_add_f32 v1, v1, v4 :: v_dual_add_nc_u32 v4, s7, v2
                                        ; implicit-def: $vgpr2
	v_add_f32_e32 v1, v1, v5
	s_delay_alu instid0(VALU_DEP_1) | instskip(NEXT) | instid1(VALU_DEP_1)
	v_add_f32_e32 v1, v1, v6
	v_add_f32_e32 v1, v1, v7
	s_delay_alu instid0(VALU_DEP_4)
	v_cmpx_gt_u32_e64 s28, v4
	s_xor_b32 s30, exec_lo, s30
	s_cbranch_execz .LBB5_34
; %bb.40:                               ;   in Loop: Header=BB5_37 Depth=1
	global_load_b128 v[4:7], v4, s[10:11] scale_offset
	v_add3_u32 v2, s9, s5, v3
	s_delay_alu instid0(VALU_DEP_1) | instskip(SKIP_3) | instid1(VALU_DEP_1)
	v_cmp_le_u32_e32 vcc_lo, s28, v2
	s_or_not1_b32 s31, vcc_lo, exec_lo
	s_wait_loadcnt 0x0
	v_pk_mul_f32 v[4:5], v[4:5], v[4:5]
	v_add_f32_e32 v1, v1, v4
	s_delay_alu instid0(VALU_DEP_1) | instskip(SKIP_1) | instid1(VALU_DEP_1)
	v_add_f32_e32 v1, v1, v5
	v_pk_mul_f32 v[4:5], v[6:7], v[6:7]
	v_add_f32_e32 v1, v1, v4
	s_delay_alu instid0(VALU_DEP_1)
	v_add_f32_e32 v1, v1, v5
	s_branch .LBB5_34
.LBB5_41:
	s_or_b32 exec_lo, exec_lo, s8
.LBB5_42:
	s_delay_alu instid0(SALU_CYCLE_1)
	s_or_b32 exec_lo, exec_lo, s4
	v_mbcnt_lo_u32_b32 v2, -1, 0
	s_wait_kmcnt 0x0
	s_cmp_lt_u32 s26, s3
	s_mov_b32 s5, 0
	s_cselect_b32 s4, 12, 18
	v_and_b32_e32 v5, 0x3c0, v0
	v_cmp_ne_u32_e32 vcc_lo, 63, v2
	s_add_nc_u64 s[0:1], s[0:1], s[4:5]
	v_cmp_eq_u32_e64 s6, 0, v2
	s_load_u16 s16, s[0:1], 0x0
	v_add_nc_u32_e32 v6, 1, v2
	v_add_co_ci_u32_e64 v3, null, 0, v2, vcc_lo
	v_cmp_gt_u32_e32 vcc_lo, 62, v2
	v_dual_add_nc_u32 v8, 4, v2 :: v_dual_add_nc_u32 v10, 8, v2
	s_delay_alu instid0(VALU_DEP_3)
	v_lshlrev_b32_e32 v4, 2, v3
	v_cndmask_b32_e64 v7, 0, 2, vcc_lo
	v_cmp_gt_u32_e32 vcc_lo, 60, v2
	ds_bpermute_b32 v3, v4, v1
	s_wait_kmcnt 0x0
	v_sub_nc_u32_e64 v9, s16, v5 clamp
	v_add_lshl_u32 v5, v7, v2, 2
	v_add_nc_u32_e32 v7, 2, v2
	s_delay_alu instid0(VALU_DEP_3) | instskip(SKIP_1) | instid1(VALU_DEP_3)
	v_cmp_lt_u32_e64 s0, v6, v9
	v_cndmask_b32_e64 v6, 0, 4, vcc_lo
	v_cmp_lt_u32_e64 s1, v7, v9
	v_cmp_gt_u32_e32 vcc_lo, 56, v2
	v_cmp_lt_u32_e64 s3, v8, v9
	v_cmp_lt_u32_e64 s4, v10, v9
	v_add_lshl_u32 v6, v6, v2, 2
	s_wait_dscnt 0x0
	v_dual_add_f32 v3, v1, v3 :: v_dual_add_nc_u32 v10, 16, v2
	v_cndmask_b32_e64 v7, 0, 8, vcc_lo
	v_cmp_gt_u32_e32 vcc_lo, 48, v2
	s_delay_alu instid0(VALU_DEP_3) | instskip(NEXT) | instid1(VALU_DEP_4)
	v_cndmask_b32_e64 v1, v1, v3, s0
	v_cmp_lt_u32_e64 s5, v10, v9
	s_delay_alu instid0(VALU_DEP_4)
	v_add_lshl_u32 v7, v7, v2, 2
	v_cndmask_b32_e64 v8, 0, 16, vcc_lo
	ds_bpermute_b32 v3, v5, v1
	v_add_lshl_u32 v8, v8, v2, 2
	s_wait_dscnt 0x0
	v_add_f32_e32 v3, v1, v3
	s_delay_alu instid0(VALU_DEP_1) | instskip(SKIP_3) | instid1(VALU_DEP_1)
	v_cndmask_b32_e64 v1, v1, v3, s1
	ds_bpermute_b32 v3, v6, v1
	s_wait_dscnt 0x0
	v_add_f32_e32 v3, v1, v3
	v_cndmask_b32_e64 v1, v1, v3, s3
	ds_bpermute_b32 v3, v7, v1
	s_wait_dscnt 0x0
	v_add_f32_e32 v3, v1, v3
	s_delay_alu instid0(VALU_DEP_1) | instskip(SKIP_3) | instid1(VALU_DEP_1)
	v_cndmask_b32_e64 v1, v1, v3, s4
	ds_bpermute_b32 v3, v8, v1
	s_wait_dscnt 0x0
	v_dual_add_f32 v11, v1, v3 :: v_dual_lshlrev_b32 v3, 2, v2
	v_dual_cndmask_b32 v1, v1, v11, s5 :: v_dual_bitop2_b32 v11, 32, v2 bitop3:0x54
	ds_bpermute_b32 v10, v3, v1 offset:128
	v_cmp_lt_u32_e64 s8, v11, v9
	s_wait_dscnt 0x0
	v_add_f32_e32 v10, v1, v10
	s_delay_alu instid0(VALU_DEP_1)
	v_cndmask_b32_e64 v1, v1, v10, s8
	s_and_saveexec_b32 s7, s6
; %bb.43:
	v_lshrrev_b32_e32 v9, 4, v0
	s_delay_alu instid0(VALU_DEP_1)
	v_and_b32_e32 v9, 60, v9
	ds_store_b32 v9, v1
; %bb.44:
	s_or_b32 exec_lo, exec_lo, s7
	v_cmp_gt_u32_e64 s7, 16, v0
	s_wait_storecnt_dscnt 0x0
	s_barrier_signal -1
	s_barrier_wait -1
	s_and_saveexec_b32 s17, s7
	s_cbranch_execz .LBB5_46
; %bb.45:
	ds_load_b32 v1, v3
	v_and_b32_e32 v9, 15, v2
	s_add_co_i32 s9, s16, 63
	s_delay_alu instid0(SALU_CYCLE_1) | instskip(NEXT) | instid1(VALU_DEP_1)
	s_lshr_b32 s29, s9, 6
	v_cmp_ne_u32_e32 vcc_lo, 15, v9
	v_add_nc_u32_e32 v12, 1, v9
	v_add_co_ci_u32_e64 v10, null, 0, v2, vcc_lo
	v_cmp_gt_u32_e32 vcc_lo, 14, v9
	s_delay_alu instid0(VALU_DEP_2)
	v_lshlrev_b32_e32 v10, 2, v10
	v_cndmask_b32_e64 v11, 0, 2, vcc_lo
	v_cmp_gt_u32_e32 vcc_lo, s29, v12
	s_wait_dscnt 0x0
	ds_bpermute_b32 v10, v10, v1
	v_add_lshl_u32 v11, v11, v2, 2
	s_wait_dscnt 0x0
	v_add_f32_e32 v10, v1, v10
	s_delay_alu instid0(VALU_DEP_1)
	v_cndmask_b32_e32 v10, v1, v10, vcc_lo
	ds_bpermute_b32 v11, v11, v10
	s_wait_dscnt 0x0
	v_add_f32_e32 v11, v10, v11
	v_cmp_gt_u32_e64 s9, 12, v9
	v_add_nc_u32_e32 v13, 2, v9
	s_delay_alu instid0(VALU_DEP_2) | instskip(NEXT) | instid1(VALU_DEP_2)
	v_cndmask_b32_e64 v12, 0, 4, s9
	v_cmp_gt_u32_e64 s9, s29, v13
	s_delay_alu instid0(VALU_DEP_2) | instskip(NEXT) | instid1(VALU_DEP_2)
	v_add_lshl_u32 v12, v12, v2, 2
	v_cndmask_b32_e64 v10, v10, v11, s9
	ds_bpermute_b32 v11, v12, v10
	v_dual_add_nc_u32 v12, 4, v9 :: v_dual_add_nc_u32 v9, 8, v9
	s_delay_alu instid0(VALU_DEP_1) | instskip(SKIP_2) | instid1(VALU_DEP_1)
	v_cmp_gt_u32_e64 s9, s29, v12
	s_wait_dscnt 0x0
	v_add_f32_e32 v11, v10, v11
	v_cndmask_b32_e64 v10, v10, v11, s9
	v_or_b32_e32 v11, 32, v3
	v_cmp_gt_u32_e64 s9, s29, v9
	ds_bpermute_b32 v11, v11, v10
	s_wait_dscnt 0x0
	v_add_f32_e32 v11, v10, v11
	s_delay_alu instid0(VALU_DEP_1) | instskip(NEXT) | instid1(VALU_DEP_1)
	v_cndmask_b32_e64 v9, v10, v11, s9
	v_cndmask_b32_e32 v1, v1, v9, vcc_lo
.LBB5_46:
	s_or_b32 exec_lo, exec_lo, s17
	v_cmp_eq_u32_e64 s9, 0, v0
	s_and_saveexec_b32 s17, s9
	s_cbranch_execz .LBB5_48
; %bb.47:
	s_cvt_f32_i32 s23, s23
	s_delay_alu instid0(SALU_CYCLE_3) | instskip(SKIP_1) | instid1(VALU_DEP_2)
	v_div_scale_f32 v9, null, s23, s23, v1
	v_div_scale_f32 v12, vcc_lo, v1, s23, v1
	v_rcp_f32_e32 v10, v9
	v_nop
	s_delay_alu instid0(TRANS32_DEP_1) | instskip(NEXT) | instid1(VALU_DEP_1)
	v_fma_f32 v11, -v9, v10, 1.0
	v_fmac_f32_e32 v10, v11, v10
	s_delay_alu instid0(VALU_DEP_1) | instskip(NEXT) | instid1(VALU_DEP_1)
	v_mul_f32_e32 v11, v12, v10
	v_fma_f32 v13, -v9, v11, v12
	s_delay_alu instid0(VALU_DEP_1) | instskip(NEXT) | instid1(VALU_DEP_1)
	v_fmac_f32_e32 v11, v13, v10
	v_fma_f32 v9, -v9, v11, v12
	s_delay_alu instid0(VALU_DEP_1) | instskip(NEXT) | instid1(VALU_DEP_1)
	v_div_fmas_f32 v9, v9, v10, v11
	v_div_fixup_f32 v1, v9, s23, v1
	s_delay_alu instid0(VALU_DEP_1) | instskip(NEXT) | instid1(VALU_DEP_1)
	v_add_f32_e32 v1, s22, v1
	v_mul_f32_e32 v9, 0x4b800000, v1
	v_cmp_gt_f32_e32 vcc_lo, 0x800000, v1
	s_delay_alu instid0(VALU_DEP_2) | instskip(NEXT) | instid1(VALU_DEP_1)
	v_cndmask_b32_e32 v1, v1, v9, vcc_lo
	v_rsq_f32_e32 v1, v1
	v_nop
	s_delay_alu instid0(TRANS32_DEP_1) | instskip(NEXT) | instid1(VALU_DEP_1)
	v_mul_f32_e32 v9, 0x45800000, v1
	v_dual_cndmask_b32 v1, v1, v9, vcc_lo :: v_dual_mov_b32 v9, 0
	ds_store_b32 v9, v1 offset:256
.LBB5_48:
	s_or_b32 exec_lo, exec_lo, s17
	v_mov_b32_e32 v9, 0
	s_wait_dscnt 0x0
	s_barrier_signal -1
	s_barrier_wait -1
	ds_load_b32 v1, v9 offset:256
	s_and_saveexec_b32 s17, s2
	s_cbranch_execz .LBB5_58
; %bb.49:
	v_dual_mov_b32 v9, 0 :: v_dual_mov_b32 v10, v0
	s_lshl_b32 s22, s16, 1
	s_mul_i32 s29, s16, 3
	s_mov_b32 s23, 0
	s_add_co_i32 s30, s16, s16
                                        ; implicit-def: $sgpr31
	s_branch .LBB5_53
.LBB5_50:                               ;   in Loop: Header=BB5_53 Depth=1
	s_or_b32 exec_lo, exec_lo, s35
	s_delay_alu instid0(SALU_CYCLE_1)
	s_or_not1_b32 s35, s36, exec_lo
.LBB5_51:                               ;   in Loop: Header=BB5_53 Depth=1
	s_or_b32 exec_lo, exec_lo, s34
	s_delay_alu instid0(SALU_CYCLE_1) | instskip(SKIP_1) | instid1(SALU_CYCLE_1)
	s_and_not1_b32 s31, s31, exec_lo
	s_and_b32 s34, s35, exec_lo
	s_or_b32 s31, s31, s34
.LBB5_52:                               ;   in Loop: Header=BB5_53 Depth=1
	s_or_b32 exec_lo, exec_lo, s33
	s_delay_alu instid0(SALU_CYCLE_1) | instskip(NEXT) | instid1(SALU_CYCLE_1)
	s_and_b32 s33, exec_lo, s31
	s_or_b32 s23, s33, s23
	s_delay_alu instid0(SALU_CYCLE_1)
	s_and_not1_b32 exec_lo, exec_lo, s23
	s_cbranch_execz .LBB5_57
.LBB5_53:                               ; =>This Inner Loop Header: Depth=1
	s_clause 0x1
	global_load_b128 v[12:15], v10, s[10:11] scale_offset
	global_load_b128 v[16:19], v10, s[18:19] scale_offset
	s_or_b32 s31, s31, exec_lo
	s_mov_b32 s33, exec_lo
	s_wait_loadcnt_dscnt 0x100
	v_dual_mul_f32 v11, v1, v12 :: v_dual_mul_f32 v12, v1, v13
	v_dual_mul_f32 v13, v1, v14 :: v_dual_mul_f32 v14, v1, v15
	s_wait_loadcnt 0x0
	s_delay_alu instid0(VALU_DEP_2) | instskip(NEXT) | instid1(VALU_DEP_2)
	v_dual_mul_f32 v11, v11, v16 :: v_dual_mul_f32 v12, v12, v17
	v_dual_mul_f32 v13, v13, v18 :: v_dual_mul_f32 v14, v14, v19
	s_delay_alu instid0(VALU_DEP_2) | instskip(SKIP_1) | instid1(VALU_DEP_2)
	v_max3_num_f32 v9, v9, |v11|, |v12|
	v_add_nc_u32_e32 v11, s16, v10
	v_max3_num_f32 v9, v9, |v13|, |v14|
	s_delay_alu instid0(VALU_DEP_2)
	v_cmpx_gt_u32_e64 s28, v11
	s_cbranch_execz .LBB5_52
; %bb.54:                               ;   in Loop: Header=BB5_53 Depth=1
	s_clause 0x1
	global_load_b128 v[12:15], v11, s[10:11] scale_offset
	global_load_b128 v[16:19], v11, s[18:19] scale_offset
	s_mov_b32 s35, -1
	s_mov_b32 s34, exec_lo
	s_wait_loadcnt 0x1
	v_dual_mul_f32 v12, v1, v12 :: v_dual_mul_f32 v13, v1, v13
	v_dual_mul_f32 v14, v1, v14 :: v_dual_mul_f32 v15, v1, v15
	s_wait_loadcnt 0x0
	s_delay_alu instid0(VALU_DEP_2) | instskip(NEXT) | instid1(VALU_DEP_2)
	v_dual_mul_f32 v12, v12, v16 :: v_dual_mul_f32 v13, v13, v17
	v_dual_mul_f32 v14, v14, v18 :: v_dual_mul_f32 v15, v15, v19
	s_delay_alu instid0(VALU_DEP_2) | instskip(SKIP_1) | instid1(VALU_DEP_2)
	v_max3_num_f32 v9, v9, |v12|, |v13|
	v_add_nc_u32_e32 v12, s22, v10
	v_max3_num_f32 v9, v9, |v14|, |v15|
	s_delay_alu instid0(VALU_DEP_2)
	v_cmpx_gt_u32_e64 s28, v12
	s_cbranch_execz .LBB5_51
; %bb.55:                               ;   in Loop: Header=BB5_53 Depth=1
	s_clause 0x1
	global_load_b128 v[14:17], v12, s[10:11] scale_offset
	global_load_b128 v[18:21], v12, s[18:19] scale_offset
	s_mov_b32 s36, -1
	s_mov_b32 s35, exec_lo
	s_wait_loadcnt 0x1
	s_wait_xcnt 0x0
	v_dual_mul_f32 v12, v1, v14 :: v_dual_mul_f32 v13, v1, v15
	v_dual_mul_f32 v14, v1, v16 :: v_dual_mul_f32 v15, v1, v17
	s_wait_loadcnt 0x0
	s_delay_alu instid0(VALU_DEP_2) | instskip(NEXT) | instid1(VALU_DEP_2)
	v_dual_mul_f32 v12, v12, v18 :: v_dual_mul_f32 v13, v13, v19
	v_dual_mul_f32 v14, v14, v20 :: v_dual_mul_f32 v15, v15, v21
	s_delay_alu instid0(VALU_DEP_2) | instskip(SKIP_1) | instid1(VALU_DEP_2)
	v_max3_num_f32 v9, v9, |v12|, |v13|
	v_add_nc_u32_e32 v12, s29, v10
                                        ; implicit-def: $vgpr10
	v_max3_num_f32 v9, v9, |v14|, |v15|
	s_delay_alu instid0(VALU_DEP_2)
	v_cmpx_gt_u32_e64 s28, v12
	s_xor_b32 s35, exec_lo, s35
	s_cbranch_execz .LBB5_50
; %bb.56:                               ;   in Loop: Header=BB5_53 Depth=1
	s_clause 0x1
	global_load_b128 v[14:17], v12, s[10:11] scale_offset
	global_load_b128 v[18:21], v12, s[18:19] scale_offset
	s_wait_loadcnt 0x1
	s_wait_xcnt 0x0
	v_dual_mul_f32 v10, v1, v14 :: v_dual_mul_f32 v12, v1, v15
	v_dual_mul_f32 v13, v1, v16 :: v_dual_mul_f32 v15, v1, v17
	s_wait_loadcnt 0x0
	s_delay_alu instid0(VALU_DEP_2) | instskip(SKIP_1) | instid1(VALU_DEP_3)
	v_dual_mul_f32 v14, v10, v18 :: v_dual_mul_f32 v12, v12, v19
	v_add3_u32 v10, s30, s16, v11
	v_mul_f32_e32 v11, v13, v20
	s_delay_alu instid0(VALU_DEP_3) | instskip(SKIP_1) | instid1(VALU_DEP_4)
	v_max3_num_f32 v9, v9, |v14|, |v12|
	v_mul_f32_e32 v12, v15, v21
	v_cmp_le_u32_e32 vcc_lo, s28, v10
	s_delay_alu instid0(VALU_DEP_2)
	v_max3_num_f32 v9, v9, |v11|, |v12|
	s_or_not1_b32 s36, vcc_lo, exec_lo
	s_branch .LBB5_50
.LBB5_57:
	s_or_b32 exec_lo, exec_lo, s23
.LBB5_58:
	s_delay_alu instid0(SALU_CYCLE_1)
	s_or_b32 exec_lo, exec_lo, s17
	ds_bpermute_b32 v4, v4, v9
	v_or_b32_e32 v10, 0x80, v3
	s_wait_dscnt 0x0
	v_cmp_lt_f32_e32 vcc_lo, v9, v4
	v_cndmask_b32_e32 v4, v9, v4, vcc_lo
	s_delay_alu instid0(VALU_DEP_1) | instskip(SKIP_1) | instid1(SALU_CYCLE_1)
	v_cndmask_b32_e64 v4, v9, v4, s0
	s_or_b32 s0, s0, s1
	s_or_b32 s0, s3, s0
	s_delay_alu instid0(SALU_CYCLE_1)
	s_or_b32 s0, s4, s0
	ds_bpermute_b32 v5, v5, v4
	s_or_b32 s0, s5, s0
	s_wait_dscnt 0x0
	v_cmp_lt_f32_e32 vcc_lo, v4, v5
	v_cndmask_b32_e32 v5, v4, v5, vcc_lo
	s_delay_alu instid0(VALU_DEP_1) | instskip(SKIP_4) | instid1(VALU_DEP_1)
	v_cndmask_b32_e64 v4, v4, v5, s1
	ds_bpermute_b32 v5, v6, v4
	s_wait_dscnt 0x0
	v_cmp_lt_f32_e32 vcc_lo, v4, v5
	v_cndmask_b32_e32 v5, v4, v5, vcc_lo
	v_cndmask_b32_e64 v4, v4, v5, s3
	ds_bpermute_b32 v5, v7, v4
	s_wait_dscnt 0x0
	v_cmp_lt_f32_e32 vcc_lo, v4, v5
	v_cndmask_b32_e32 v5, v4, v5, vcc_lo
	s_delay_alu instid0(VALU_DEP_1) | instskip(SKIP_4) | instid1(VALU_DEP_1)
	v_cndmask_b32_e64 v4, v4, v5, s4
	ds_bpermute_b32 v5, v8, v4
	s_wait_dscnt 0x0
	v_cmp_lt_f32_e32 vcc_lo, v4, v5
	v_cndmask_b32_e32 v5, v4, v5, vcc_lo
	v_cndmask_b32_e64 v4, v4, v5, s5
	ds_bpermute_b32 v5, v10, v4
	s_wait_dscnt 0x0
	v_cmp_lt_f32_e32 vcc_lo, v4, v5
	s_and_b32 vcc_lo, s8, vcc_lo
	v_cndmask_b32_e32 v4, v4, v5, vcc_lo
	s_or_b32 vcc_lo, s8, s0
	s_delay_alu instid0(VALU_DEP_1)
	v_cndmask_b32_e32 v4, v9, v4, vcc_lo
	s_and_saveexec_b32 s0, s6
; %bb.59:
	v_lshrrev_b32_e32 v5, 4, v0
	s_delay_alu instid0(VALU_DEP_1)
	v_and_b32_e32 v5, 60, v5
	ds_store_b32 v5, v4 offset:64
; %bb.60:
	s_or_b32 exec_lo, exec_lo, s0
	s_wait_dscnt 0x0
	s_barrier_signal -1
	s_barrier_wait -1
	s_and_saveexec_b32 s3, s7
	s_cbranch_execz .LBB5_62
; %bb.61:
	ds_load_b32 v4, v3 offset:64
	v_and_b32_e32 v5, 15, v2
	s_add_co_i32 s0, s16, 63
	v_or_b32_e32 v3, 32, v3
	s_lshr_b32 s1, s0, 6
	s_delay_alu instid0(VALU_DEP_2) | instskip(SKIP_4) | instid1(VALU_DEP_3)
	v_cmp_ne_u32_e32 vcc_lo, 15, v5
	v_add_nc_u32_e32 v7, 1, v5
	v_cmp_gt_u32_e64 s0, 12, v5
	v_add_co_ci_u32_e64 v6, null, 0, v2, vcc_lo
	v_cmp_gt_u32_e32 vcc_lo, 14, v5
	v_cndmask_b32_e64 v9, 0, 4, s0
	s_delay_alu instid0(VALU_DEP_3)
	v_lshlrev_b32_e32 v6, 2, v6
	v_cndmask_b32_e64 v8, 0, 2, vcc_lo
	s_wait_dscnt 0x0
	ds_bpermute_b32 v6, v6, v4
	v_add_lshl_u32 v8, v8, v2, 2
	v_add_lshl_u32 v2, v9, v2, 2
	s_wait_dscnt 0x0
	v_cmp_lt_f32_e32 vcc_lo, v4, v6
	v_cndmask_b32_e32 v6, v4, v6, vcc_lo
	v_cmp_gt_u32_e32 vcc_lo, s1, v7
	s_delay_alu instid0(VALU_DEP_2) | instskip(SKIP_3) | instid1(VALU_DEP_1)
	v_cndmask_b32_e32 v6, v4, v6, vcc_lo
	ds_bpermute_b32 v7, v8, v6
	s_wait_dscnt 0x0
	v_cmp_lt_f32_e64 s0, v6, v7
	v_dual_cndmask_b32 v7, v6, v7, s0 :: v_dual_add_nc_u32 v8, 2, v5
	s_delay_alu instid0(VALU_DEP_1) | instskip(NEXT) | instid1(VALU_DEP_1)
	v_cmp_gt_u32_e64 s0, s1, v8
	v_dual_cndmask_b32 v6, v6, v7, s0 :: v_dual_add_nc_u32 v7, 4, v5
	v_add_nc_u32_e32 v5, 8, v5
	ds_bpermute_b32 v2, v2, v6
	s_wait_dscnt 0x0
	v_cmp_lt_f32_e64 s0, v6, v2
	s_delay_alu instid0(VALU_DEP_1) | instskip(SKIP_1) | instid1(VALU_DEP_1)
	v_cndmask_b32_e64 v2, v6, v2, s0
	v_cmp_gt_u32_e64 s0, s1, v7
	v_cndmask_b32_e64 v2, v6, v2, s0
	v_cmp_gt_u32_e64 s0, s1, v5
	ds_bpermute_b32 v3, v3, v2
	s_wait_dscnt 0x0
	v_cmp_lt_f32_e64 s1, v2, v3
	s_and_b32 s0, s0, s1
	s_delay_alu instid0(SALU_CYCLE_1) | instskip(NEXT) | instid1(VALU_DEP_1)
	v_cndmask_b32_e64 v2, v2, v3, s0
	v_cndmask_b32_e32 v4, v4, v2, vcc_lo
.LBB5_62:
	s_or_b32 exec_lo, exec_lo, s3
	s_and_saveexec_b32 s0, s9
	s_cbranch_execz .LBB5_66
; %bb.63:
	s_cmp_eq_u64 s[20:21], 0
	s_cbranch_scc1 .LBB5_65
; %bb.64:
	v_dual_mov_b32 v2, 0 :: v_dual_max_num_f32 v3, v4, v4
	global_load_b32 v2, v2, s[20:21]
	s_wait_loadcnt 0x0
	v_max_num_f32_e32 v2, v2, v2
	s_delay_alu instid0(VALU_DEP_1)
	v_min_num_f32_e32 v4, v3, v2
.LBB5_65:
	s_delay_alu instid0(VALU_DEP_1)
	v_div_scale_f32 v2, null, 0x42fe0000, 0x42fe0000, v4
	v_div_scale_f32 v6, vcc_lo, v4, 0x42fe0000, v4
	s_lshl_b64 s[4:5], s[26:27], 2
	v_rcp_f32_e32 v3, v2
	s_add_nc_u64 s[4:5], s[14:15], s[4:5]
	v_nop
	s_delay_alu instid0(TRANS32_DEP_1) | instskip(NEXT) | instid1(VALU_DEP_1)
	v_fma_f32 v5, -v2, v3, 1.0
	v_fmac_f32_e32 v3, v5, v3
	s_delay_alu instid0(VALU_DEP_1) | instskip(NEXT) | instid1(VALU_DEP_1)
	v_mul_f32_e32 v5, v6, v3
	v_fma_f32 v7, -v2, v5, v6
	s_delay_alu instid0(VALU_DEP_1) | instskip(NEXT) | instid1(VALU_DEP_1)
	v_fmac_f32_e32 v5, v7, v3
	v_fma_f32 v2, -v2, v5, v6
	s_delay_alu instid0(VALU_DEP_1) | instskip(SKIP_1) | instid1(VALU_DEP_2)
	v_div_fmas_f32 v2, v2, v3, v5
	v_mov_b32_e32 v3, 0
	v_div_fixup_f32 v2, v2, 0x42fe0000, v4
	s_delay_alu instid0(VALU_DEP_1)
	v_max_num_f32_e32 v2, 0x34000000, v2
	ds_store_b32 v3, v2 offset:260
	global_store_b32 v3, v2, s[4:5]
.LBB5_66:
	s_wait_xcnt 0x0
	s_or_b32 exec_lo, exec_lo, s0
	s_wait_storecnt_dscnt 0x0
	s_barrier_signal -1
	s_barrier_wait -1
	s_and_saveexec_b32 s0, s2
	s_cbranch_execz .LBB5_75
; %bb.67:
	v_mov_b32_e32 v2, 0
	s_add_nc_u64 s[0:1], s[12:13], s[24:25]
	s_lshl_b32 s2, s16, 1
	s_mul_i32 s3, s16, 3
	s_mov_b32 s4, 0
	ds_load_b32 v2, v2 offset:260
	s_add_co_i32 s5, s16, s16
                                        ; implicit-def: $sgpr6
	s_wait_dscnt 0x0
	v_div_scale_f32 v3, null, v2, v2, 1.0
	v_div_scale_f32 v6, vcc_lo, 1.0, v2, 1.0
	s_delay_alu instid0(VALU_DEP_2)
	v_rcp_f32_e32 v4, v3
	v_nop
	v_xor_b32_e32 v3, 0x80000000, v3
	s_delay_alu instid0(TRANS32_DEP_1) | instid1(VALU_DEP_1)
	v_fma_f32 v5, v3, v4, 1.0
	s_delay_alu instid0(VALU_DEP_1) | instskip(NEXT) | instid1(VALU_DEP_1)
	v_fmac_f32_e32 v4, v5, v4
	v_mul_f32_e32 v5, v6, v4
	s_delay_alu instid0(VALU_DEP_1) | instskip(NEXT) | instid1(VALU_DEP_1)
	v_fma_f32 v7, v3, v5, v6
	v_fmac_f32_e32 v5, v7, v4
	s_delay_alu instid0(VALU_DEP_1) | instskip(NEXT) | instid1(VALU_DEP_1)
	v_fmac_f32_e32 v6, v3, v5
	v_div_fmas_f32 v3, v6, v4, v5
	s_delay_alu instid0(VALU_DEP_1)
	v_div_fixup_f32 v2, v3, v2, 1.0
	s_branch .LBB5_71
.LBB5_68:                               ;   in Loop: Header=BB5_71 Depth=1
	s_wait_xcnt 0x0
	s_or_b32 exec_lo, exec_lo, s9
	s_delay_alu instid0(SALU_CYCLE_1)
	s_or_not1_b32 s9, s12, exec_lo
.LBB5_69:                               ;   in Loop: Header=BB5_71 Depth=1
	s_or_b32 exec_lo, exec_lo, s8
	s_delay_alu instid0(SALU_CYCLE_1) | instskip(SKIP_1) | instid1(SALU_CYCLE_1)
	s_and_not1_b32 s6, s6, exec_lo
	s_and_b32 s8, s9, exec_lo
	s_or_b32 s6, s6, s8
.LBB5_70:                               ;   in Loop: Header=BB5_71 Depth=1
	s_or_b32 exec_lo, exec_lo, s7
	s_delay_alu instid0(SALU_CYCLE_1) | instskip(NEXT) | instid1(SALU_CYCLE_1)
	s_and_b32 s7, exec_lo, s6
	s_or_b32 s4, s7, s4
	s_delay_alu instid0(SALU_CYCLE_1)
	s_and_not1_b32 exec_lo, exec_lo, s4
	s_cbranch_execz .LBB5_75
.LBB5_71:                               ; =>This Inner Loop Header: Depth=1
	s_clause 0x1
	global_load_b128 v[4:7], v0, s[10:11] scale_offset
	global_load_b128 v[8:11], v0, s[18:19] scale_offset
	s_or_b32 s6, s6, exec_lo
	s_mov_b32 s7, exec_lo
	s_wait_loadcnt 0x1
	v_dual_mul_f32 v3, v1, v6 :: v_dual_mul_f32 v5, v1, v5
	s_wait_loadcnt 0x0
	s_delay_alu instid0(VALU_DEP_1) | instskip(NEXT) | instid1(VALU_DEP_2)
	v_dual_mul_f32 v4, v1, v4 :: v_dual_mul_f32 v3, v3, v10
	v_mul_f32_e32 v5, v5, v9
	s_delay_alu instid0(VALU_DEP_2) | instskip(NEXT) | instid1(VALU_DEP_2)
	v_dual_mul_f32 v6, v1, v7 :: v_dual_mul_f32 v4, v4, v8
	v_dual_mul_f32 v3, v2, v3 :: v_dual_mul_f32 v5, v2, v5
	s_delay_alu instid0(VALU_DEP_2) | instskip(NEXT) | instid1(VALU_DEP_2)
	v_mul_f32_e32 v4, v2, v4
	v_rndne_f32_e32 v3, v3
	s_delay_alu instid0(VALU_DEP_3) | instskip(NEXT) | instid1(VALU_DEP_3)
	v_rndne_f32_e32 v5, v5
	v_rndne_f32_e32 v4, v4
	s_delay_alu instid0(VALU_DEP_3) | instskip(SKIP_1) | instid1(VALU_DEP_4)
	v_cmp_nlt_f32_e32 vcc_lo, 0x42fe0000, v3
	v_cndmask_b32_e32 v7, 0x42fe0000, v3, vcc_lo
	v_cmp_nlt_f32_e32 vcc_lo, 0x42fe0000, v5
	v_cndmask_b32_e32 v8, 0x42fe0000, v5, vcc_lo
	v_mul_f32_e32 v6, v6, v11
	v_cmp_ngt_f32_e32 vcc_lo, 0xc3000000, v3
	s_delay_alu instid0(VALU_DEP_2) | instskip(NEXT) | instid1(VALU_DEP_1)
	v_dual_mul_f32 v6, v2, v6 :: v_dual_cndmask_b32 v3, 0xc3000000, v7
	v_rndne_f32_e32 v6, v6
	s_delay_alu instid0(VALU_DEP_2) | instskip(NEXT) | instid1(VALU_DEP_2)
	v_cvt_i32_f32_e32 v3, v3
	v_cmp_nlt_f32_e32 vcc_lo, 0x42fe0000, v6
	s_delay_alu instid0(VALU_DEP_2) | instskip(SKIP_2) | instid1(VALU_DEP_3)
	v_and_b32_e32 v3, 0xff, v3
	v_cndmask_b32_e32 v7, 0x42fe0000, v6, vcc_lo
	v_cmp_ngt_f32_e32 vcc_lo, 0xc3000000, v5
	v_lshlrev_b32_e32 v3, 16, v3
	v_cndmask_b32_e32 v5, 0xc3000000, v8, vcc_lo
	v_cmp_nlt_f32_e32 vcc_lo, 0x42fe0000, v4
	s_delay_alu instid0(VALU_DEP_2) | instskip(NEXT) | instid1(VALU_DEP_1)
	v_cvt_i32_f32_e32 v5, v5
	v_and_b32_e32 v5, 0xff, v5
	v_cndmask_b32_e32 v8, 0x42fe0000, v4, vcc_lo
	v_cmp_ngt_f32_e32 vcc_lo, 0xc3000000, v6
	s_delay_alu instid0(VALU_DEP_3) | instskip(SKIP_1) | instid1(VALU_DEP_2)
	v_dual_cndmask_b32 v6, 0xc3000000, v7 :: v_dual_lshlrev_b32 v5, 8, v5
	v_cmp_ngt_f32_e32 vcc_lo, 0xc3000000, v4
	v_cvt_i32_f32_e32 v6, v6
	v_cndmask_b32_e32 v4, 0xc3000000, v8, vcc_lo
	s_delay_alu instid0(VALU_DEP_2) | instskip(NEXT) | instid1(VALU_DEP_2)
	v_lshl_or_b32 v6, v6, 24, v3
	v_cvt_i32_f32_e32 v4, v4
	v_add_nc_u32_e32 v3, s16, v0
	s_delay_alu instid0(VALU_DEP_2) | instskip(NEXT) | instid1(VALU_DEP_1)
	v_and_b32_e32 v4, 0xff, v4
	v_or3_b32 v4, v6, v5, v4
	global_store_b32 v0, v4, s[0:1] scale_offset
	s_wait_xcnt 0x0
	v_cmpx_gt_u32_e64 s28, v3
	s_cbranch_execz .LBB5_70
; %bb.72:                               ;   in Loop: Header=BB5_71 Depth=1
	s_clause 0x1
	global_load_b128 v[4:7], v3, s[10:11] scale_offset
	global_load_b128 v[8:11], v3, s[18:19] scale_offset
	s_mov_b32 s9, -1
	s_mov_b32 s8, exec_lo
	s_wait_loadcnt 0x1
	v_dual_mul_f32 v6, v1, v6 :: v_dual_mul_f32 v5, v1, v5
	s_wait_loadcnt 0x0
	s_delay_alu instid0(VALU_DEP_1) | instskip(NEXT) | instid1(VALU_DEP_1)
	v_dual_mul_f32 v4, v1, v4 :: v_dual_mul_f32 v6, v6, v10
	v_dual_mul_f32 v7, v1, v7 :: v_dual_mul_f32 v4, v4, v8
	s_delay_alu instid0(VALU_DEP_2) | instskip(NEXT) | instid1(VALU_DEP_1)
	v_dual_mul_f32 v5, v5, v9 :: v_dual_mul_f32 v6, v2, v6
	v_dual_mul_f32 v7, v7, v11 :: v_dual_mul_f32 v5, v2, v5
	s_delay_alu instid0(VALU_DEP_3) | instskip(NEXT) | instid1(VALU_DEP_3)
	v_mul_f32_e32 v4, v2, v4
	v_rndne_f32_e32 v6, v6
	s_delay_alu instid0(VALU_DEP_3) | instskip(NEXT) | instid1(VALU_DEP_4)
	v_mul_f32_e32 v7, v2, v7
	v_rndne_f32_e32 v5, v5
	s_delay_alu instid0(VALU_DEP_4) | instskip(NEXT) | instid1(VALU_DEP_4)
	v_rndne_f32_e32 v4, v4
	v_cmp_nlt_f32_e32 vcc_lo, 0x42fe0000, v6
	s_delay_alu instid0(VALU_DEP_4) | instskip(SKIP_4) | instid1(VALU_DEP_4)
	v_rndne_f32_e32 v7, v7
	v_cndmask_b32_e32 v8, 0x42fe0000, v6, vcc_lo
	v_cmp_nlt_f32_e32 vcc_lo, 0x42fe0000, v5
	v_cndmask_b32_e32 v9, 0x42fe0000, v5, vcc_lo
	v_cmp_ngt_f32_e32 vcc_lo, 0xc3000000, v6
	v_cndmask_b32_e32 v6, 0xc3000000, v8, vcc_lo
	v_cmp_nlt_f32_e32 vcc_lo, 0x42fe0000, v7
	s_delay_alu instid0(VALU_DEP_2) | instskip(SKIP_2) | instid1(VALU_DEP_3)
	v_cvt_i32_f32_e32 v6, v6
	v_cndmask_b32_e32 v8, 0x42fe0000, v7, vcc_lo
	v_cmp_ngt_f32_e32 vcc_lo, 0xc3000000, v5
	v_and_b32_e32 v6, 0xff, v6
	s_delay_alu instid0(VALU_DEP_1) | instskip(SKIP_1) | instid1(VALU_DEP_2)
	v_dual_cndmask_b32 v5, 0xc3000000, v9 :: v_dual_lshlrev_b32 v6, 16, v6
	v_cmp_nlt_f32_e32 vcc_lo, 0x42fe0000, v4
	v_cvt_i32_f32_e32 v5, v5
	s_delay_alu instid0(VALU_DEP_1)
	v_and_b32_e32 v5, 0xff, v5
	v_cndmask_b32_e32 v9, 0x42fe0000, v4, vcc_lo
	v_cmp_ngt_f32_e32 vcc_lo, 0xc3000000, v7
	v_cndmask_b32_e32 v7, 0xc3000000, v8, vcc_lo
	v_cmp_ngt_f32_e32 vcc_lo, 0xc3000000, v4
	v_dual_lshlrev_b32 v8, 8, v5 :: v_dual_add_nc_u32 v5, s2, v0
	s_delay_alu instid0(VALU_DEP_3) | instskip(SKIP_1) | instid1(VALU_DEP_2)
	v_cvt_i32_f32_e32 v7, v7
	v_cndmask_b32_e32 v4, 0xc3000000, v9, vcc_lo
	v_lshl_or_b32 v6, v7, 24, v6
	s_delay_alu instid0(VALU_DEP_2) | instskip(NEXT) | instid1(VALU_DEP_1)
	v_cvt_i32_f32_e32 v4, v4
	v_and_b32_e32 v4, 0xff, v4
	s_delay_alu instid0(VALU_DEP_1)
	v_or3_b32 v4, v6, v8, v4
	global_store_b32 v3, v4, s[0:1] scale_offset
	s_wait_xcnt 0x0
	v_cmpx_gt_u32_e64 s28, v5
	s_cbranch_execz .LBB5_69
; %bb.73:                               ;   in Loop: Header=BB5_71 Depth=1
	s_clause 0x1
	global_load_b128 v[6:9], v5, s[10:11] scale_offset
	global_load_b128 v[10:13], v5, s[18:19] scale_offset
	s_mov_b32 s12, -1
	s_mov_b32 s9, exec_lo
	s_wait_loadcnt 0x1
	v_dual_mul_f32 v4, v1, v8 :: v_dual_mul_f32 v7, v1, v7
	v_dual_mul_f32 v6, v1, v6 :: v_dual_mul_f32 v8, v1, v9
	s_wait_loadcnt 0x0
	s_delay_alu instid0(VALU_DEP_2) | instskip(NEXT) | instid1(VALU_DEP_2)
	v_dual_mul_f32 v4, v4, v12 :: v_dual_mul_f32 v7, v7, v11
	v_dual_mul_f32 v6, v6, v10 :: v_dual_mul_f32 v8, v8, v13
	s_delay_alu instid0(VALU_DEP_2) | instskip(NEXT) | instid1(VALU_DEP_2)
	v_dual_mul_f32 v4, v2, v4 :: v_dual_mul_f32 v7, v2, v7
	v_dual_mul_f32 v6, v2, v6 :: v_dual_mul_f32 v8, v2, v8
	s_delay_alu instid0(VALU_DEP_2) | instskip(NEXT) | instid1(VALU_DEP_3)
	v_rndne_f32_e32 v4, v4
	v_rndne_f32_e32 v7, v7
	s_delay_alu instid0(VALU_DEP_3) | instskip(NEXT) | instid1(VALU_DEP_4)
	v_rndne_f32_e32 v6, v6
	v_rndne_f32_e32 v8, v8
	s_delay_alu instid0(VALU_DEP_4) | instskip(SKIP_4) | instid1(VALU_DEP_4)
	v_cmp_nlt_f32_e32 vcc_lo, 0x42fe0000, v4
	v_cndmask_b32_e32 v9, 0x42fe0000, v4, vcc_lo
	v_cmp_nlt_f32_e32 vcc_lo, 0x42fe0000, v7
	v_cndmask_b32_e32 v10, 0x42fe0000, v7, vcc_lo
	v_cmp_ngt_f32_e32 vcc_lo, 0xc3000000, v4
	v_cndmask_b32_e32 v4, 0xc3000000, v9, vcc_lo
	v_cmp_nlt_f32_e32 vcc_lo, 0x42fe0000, v8
	s_delay_alu instid0(VALU_DEP_2) | instskip(SKIP_2) | instid1(VALU_DEP_3)
	v_cvt_i32_f32_e32 v4, v4
	v_cndmask_b32_e32 v9, 0x42fe0000, v8, vcc_lo
	v_cmp_ngt_f32_e32 vcc_lo, 0xc3000000, v7
	v_and_b32_e32 v4, 0xff, v4
	v_cndmask_b32_e32 v7, 0xc3000000, v10, vcc_lo
	v_cmp_nlt_f32_e32 vcc_lo, 0x42fe0000, v6
	s_delay_alu instid0(VALU_DEP_3) | instskip(NEXT) | instid1(VALU_DEP_3)
	v_lshlrev_b32_e32 v4, 16, v4
	v_cvt_i32_f32_e32 v7, v7
	v_cndmask_b32_e32 v10, 0x42fe0000, v6, vcc_lo
	v_cmp_ngt_f32_e32 vcc_lo, 0xc3000000, v8
	s_delay_alu instid0(VALU_DEP_3) | instskip(SKIP_2) | instid1(VALU_DEP_3)
	v_and_b32_e32 v7, 0xff, v7
	v_cndmask_b32_e32 v8, 0xc3000000, v9, vcc_lo
	v_cmp_ngt_f32_e32 vcc_lo, 0xc3000000, v6
	v_lshlrev_b32_e32 v7, 8, v7
	s_delay_alu instid0(VALU_DEP_3) | instskip(SKIP_1) | instid1(VALU_DEP_2)
	v_cvt_i32_f32_e32 v8, v8
	v_cndmask_b32_e32 v6, 0xc3000000, v10, vcc_lo
	v_lshl_or_b32 v8, v8, 24, v4
	s_delay_alu instid0(VALU_DEP_2) | instskip(SKIP_1) | instid1(VALU_DEP_2)
	v_cvt_i32_f32_e32 v6, v6
	v_add_nc_u32_e32 v4, s3, v0
	v_and_b32_e32 v6, 0xff, v6
	s_delay_alu instid0(VALU_DEP_1)
	v_or3_b32 v0, v8, v7, v6
	global_store_b32 v5, v0, s[0:1] scale_offset
                                        ; implicit-def: $vgpr0
	s_wait_xcnt 0x0
	v_cmpx_gt_u32_e64 s28, v4
	s_cbranch_execz .LBB5_68
; %bb.74:                               ;   in Loop: Header=BB5_71 Depth=1
	s_clause 0x1
	global_load_b128 v[6:9], v4, s[10:11] scale_offset
	global_load_b128 v[10:13], v4, s[18:19] scale_offset
	s_wait_loadcnt 0x1
	v_dual_mul_f32 v0, v1, v8 :: v_dual_mul_f32 v5, v1, v7
	s_wait_loadcnt 0x0
	s_delay_alu instid0(VALU_DEP_1) | instskip(NEXT) | instid1(VALU_DEP_1)
	v_dual_mul_f32 v6, v1, v6 :: v_dual_mul_f32 v0, v0, v12
	v_dual_mul_f32 v7, v1, v9 :: v_dual_mul_f32 v6, v6, v10
	s_delay_alu instid0(VALU_DEP_2) | instskip(NEXT) | instid1(VALU_DEP_2)
	v_dual_mul_f32 v5, v5, v11 :: v_dual_mul_f32 v0, v2, v0
	v_dual_mul_f32 v7, v7, v13 :: v_dual_mul_f32 v6, v2, v6
	s_delay_alu instid0(VALU_DEP_2) | instskip(NEXT) | instid1(VALU_DEP_3)
	v_mul_f32_e32 v5, v2, v5
	v_rndne_f32_e32 v0, v0
	s_delay_alu instid0(VALU_DEP_3) | instskip(NEXT) | instid1(VALU_DEP_4)
	v_mul_f32_e32 v7, v2, v7
	v_rndne_f32_e32 v6, v6
	s_delay_alu instid0(VALU_DEP_4) | instskip(NEXT) | instid1(VALU_DEP_4)
	v_rndne_f32_e32 v5, v5
	v_cmp_nlt_f32_e32 vcc_lo, 0x42fe0000, v0
	s_delay_alu instid0(VALU_DEP_4) | instskip(SKIP_1) | instid1(VALU_DEP_4)
	v_rndne_f32_e32 v7, v7
	v_cndmask_b32_e32 v8, 0x42fe0000, v0, vcc_lo
	v_cmp_nlt_f32_e32 vcc_lo, 0x42fe0000, v5
	v_cndmask_b32_e32 v9, 0x42fe0000, v5, vcc_lo
	v_cmp_ngt_f32_e32 vcc_lo, 0xc3000000, v0
	s_delay_alu instid0(VALU_DEP_4) | instskip(SKIP_1) | instid1(VALU_DEP_2)
	v_cndmask_b32_e32 v0, 0xc3000000, v8, vcc_lo
	v_cmp_nlt_f32_e32 vcc_lo, 0x42fe0000, v7
	v_cvt_i32_f32_e32 v0, v0
	v_cndmask_b32_e32 v8, 0x42fe0000, v7, vcc_lo
	v_cmp_ngt_f32_e32 vcc_lo, 0xc3000000, v5
	s_delay_alu instid0(VALU_DEP_3) | instskip(SKIP_2) | instid1(VALU_DEP_2)
	v_and_b32_e32 v0, 0xff, v0
	v_cndmask_b32_e32 v5, 0xc3000000, v9, vcc_lo
	v_cmp_nlt_f32_e32 vcc_lo, 0x42fe0000, v6
	v_cvt_i32_f32_e32 v5, v5
	v_cndmask_b32_e32 v9, 0x42fe0000, v6, vcc_lo
	v_cmp_ngt_f32_e32 vcc_lo, 0xc3000000, v7
	s_delay_alu instid0(VALU_DEP_3)
	v_and_b32_e32 v5, 0xff, v5
	v_cndmask_b32_e32 v7, 0xc3000000, v8, vcc_lo
	v_cmp_ngt_f32_e32 vcc_lo, 0xc3000000, v6
	v_lshlrev_b32_e32 v8, 16, v0
	v_add3_u32 v0, s5, s16, v3
	v_lshlrev_b32_e32 v3, 8, v5
	v_cvt_i32_f32_e32 v7, v7
	v_cndmask_b32_e32 v6, 0xc3000000, v9, vcc_lo
	s_delay_alu instid0(VALU_DEP_4) | instskip(NEXT) | instid1(VALU_DEP_3)
	v_cmp_le_u32_e32 vcc_lo, s28, v0
	v_lshl_or_b32 v5, v7, 24, v8
	s_delay_alu instid0(VALU_DEP_3) | instskip(SKIP_1) | instid1(VALU_DEP_1)
	v_cvt_i32_f32_e32 v6, v6
	s_or_not1_b32 s12, vcc_lo, exec_lo
	v_and_b32_e32 v6, 0xff, v6
	s_delay_alu instid0(VALU_DEP_1)
	v_or3_b32 v3, v5, v3, v6
	global_store_b32 v4, v3, s[0:1] scale_offset
	s_branch .LBB5_68
.LBB5_75:
	s_endpgm
	.section	.rodata,"a",@progbits
	.p2align	6, 0x0
	.amdhsa_kernel _ZN4vllm39rms_norm_dynamic_per_token_quant_kernelIfaLb0EEEvPT0_PfPKT_S6_PKffiPS4_
		.amdhsa_group_segment_fixed_size 272
		.amdhsa_private_segment_fixed_size 0
		.amdhsa_kernarg_size 312
		.amdhsa_user_sgpr_count 2
		.amdhsa_user_sgpr_dispatch_ptr 0
		.amdhsa_user_sgpr_queue_ptr 0
		.amdhsa_user_sgpr_kernarg_segment_ptr 1
		.amdhsa_user_sgpr_dispatch_id 0
		.amdhsa_user_sgpr_kernarg_preload_length 0
		.amdhsa_user_sgpr_kernarg_preload_offset 0
		.amdhsa_user_sgpr_private_segment_size 0
		.amdhsa_wavefront_size32 1
		.amdhsa_uses_dynamic_stack 0
		.amdhsa_enable_private_segment 0
		.amdhsa_system_sgpr_workgroup_id_x 1
		.amdhsa_system_sgpr_workgroup_id_y 0
		.amdhsa_system_sgpr_workgroup_id_z 0
		.amdhsa_system_sgpr_workgroup_info 0
		.amdhsa_system_vgpr_workitem_id 0
		.amdhsa_next_free_vgpr 24
		.amdhsa_next_free_sgpr 37
		.amdhsa_named_barrier_count 0
		.amdhsa_reserve_vcc 1
		.amdhsa_float_round_mode_32 0
		.amdhsa_float_round_mode_16_64 0
		.amdhsa_float_denorm_mode_32 3
		.amdhsa_float_denorm_mode_16_64 3
		.amdhsa_fp16_overflow 0
		.amdhsa_memory_ordered 1
		.amdhsa_forward_progress 1
		.amdhsa_inst_pref_size 58
		.amdhsa_round_robin_scheduling 0
		.amdhsa_exception_fp_ieee_invalid_op 0
		.amdhsa_exception_fp_denorm_src 0
		.amdhsa_exception_fp_ieee_div_zero 0
		.amdhsa_exception_fp_ieee_overflow 0
		.amdhsa_exception_fp_ieee_underflow 0
		.amdhsa_exception_fp_ieee_inexact 0
		.amdhsa_exception_int_div_zero 0
	.end_amdhsa_kernel
	.section	.text._ZN4vllm39rms_norm_dynamic_per_token_quant_kernelIfaLb0EEEvPT0_PfPKT_S6_PKffiPS4_,"axG",@progbits,_ZN4vllm39rms_norm_dynamic_per_token_quant_kernelIfaLb0EEEvPT0_PfPKT_S6_PKffiPS4_,comdat
.Lfunc_end5:
	.size	_ZN4vllm39rms_norm_dynamic_per_token_quant_kernelIfaLb0EEEvPT0_PfPKT_S6_PKffiPS4_, .Lfunc_end5-_ZN4vllm39rms_norm_dynamic_per_token_quant_kernelIfaLb0EEEvPT0_PfPKT_S6_PKffiPS4_
                                        ; -- End function
	.set _ZN4vllm39rms_norm_dynamic_per_token_quant_kernelIfaLb0EEEvPT0_PfPKT_S6_PKffiPS4_.num_vgpr, 24
	.set _ZN4vllm39rms_norm_dynamic_per_token_quant_kernelIfaLb0EEEvPT0_PfPKT_S6_PKffiPS4_.num_agpr, 0
	.set _ZN4vllm39rms_norm_dynamic_per_token_quant_kernelIfaLb0EEEvPT0_PfPKT_S6_PKffiPS4_.numbered_sgpr, 37
	.set _ZN4vllm39rms_norm_dynamic_per_token_quant_kernelIfaLb0EEEvPT0_PfPKT_S6_PKffiPS4_.num_named_barrier, 0
	.set _ZN4vllm39rms_norm_dynamic_per_token_quant_kernelIfaLb0EEEvPT0_PfPKT_S6_PKffiPS4_.private_seg_size, 0
	.set _ZN4vllm39rms_norm_dynamic_per_token_quant_kernelIfaLb0EEEvPT0_PfPKT_S6_PKffiPS4_.uses_vcc, 1
	.set _ZN4vllm39rms_norm_dynamic_per_token_quant_kernelIfaLb0EEEvPT0_PfPKT_S6_PKffiPS4_.uses_flat_scratch, 0
	.set _ZN4vllm39rms_norm_dynamic_per_token_quant_kernelIfaLb0EEEvPT0_PfPKT_S6_PKffiPS4_.has_dyn_sized_stack, 0
	.set _ZN4vllm39rms_norm_dynamic_per_token_quant_kernelIfaLb0EEEvPT0_PfPKT_S6_PKffiPS4_.has_recursion, 0
	.set _ZN4vllm39rms_norm_dynamic_per_token_quant_kernelIfaLb0EEEvPT0_PfPKT_S6_PKffiPS4_.has_indirect_call, 0
	.section	.AMDGPU.csdata,"",@progbits
; Kernel info:
; codeLenInByte = 7308
; TotalNumSgprs: 39
; NumVgprs: 24
; ScratchSize: 0
; MemoryBound: 0
; FloatMode: 240
; IeeeMode: 1
; LDSByteSize: 272 bytes/workgroup (compile time only)
; SGPRBlocks: 0
; VGPRBlocks: 1
; NumSGPRsForWavesPerEU: 39
; NumVGPRsForWavesPerEU: 24
; NamedBarCnt: 0
; Occupancy: 16
; WaveLimiterHint : 0
; COMPUTE_PGM_RSRC2:SCRATCH_EN: 0
; COMPUTE_PGM_RSRC2:USER_SGPR: 2
; COMPUTE_PGM_RSRC2:TRAP_HANDLER: 0
; COMPUTE_PGM_RSRC2:TGID_X_EN: 1
; COMPUTE_PGM_RSRC2:TGID_Y_EN: 0
; COMPUTE_PGM_RSRC2:TGID_Z_EN: 0
; COMPUTE_PGM_RSRC2:TIDIG_COMP_CNT: 0
	.section	.text._ZN4vllm39rms_norm_dynamic_per_token_quant_kernelIN3c104HalfENS1_13Float8_e4m3fnELb1EEEvPT0_PfPKT_S9_PKffiPS7_,"axG",@progbits,_ZN4vllm39rms_norm_dynamic_per_token_quant_kernelIN3c104HalfENS1_13Float8_e4m3fnELb1EEEvPT0_PfPKT_S9_PKffiPS7_,comdat
	.protected	_ZN4vllm39rms_norm_dynamic_per_token_quant_kernelIN3c104HalfENS1_13Float8_e4m3fnELb1EEEvPT0_PfPKT_S9_PKffiPS7_ ; -- Begin function _ZN4vllm39rms_norm_dynamic_per_token_quant_kernelIN3c104HalfENS1_13Float8_e4m3fnELb1EEEvPT0_PfPKT_S9_PKffiPS7_
	.globl	_ZN4vllm39rms_norm_dynamic_per_token_quant_kernelIN3c104HalfENS1_13Float8_e4m3fnELb1EEEvPT0_PfPKT_S9_PKffiPS7_
	.p2align	8
	.type	_ZN4vllm39rms_norm_dynamic_per_token_quant_kernelIN3c104HalfENS1_13Float8_e4m3fnELb1EEEvPT0_PfPKT_S9_PKffiPS7_,@function
_ZN4vllm39rms_norm_dynamic_per_token_quant_kernelIN3c104HalfENS1_13Float8_e4m3fnELb1EEEvPT0_PfPKT_S9_PKffiPS7_: ; @_ZN4vllm39rms_norm_dynamic_per_token_quant_kernelIN3c104HalfENS1_13Float8_e4m3fnELb1EEEvPT0_PfPKT_S9_PKffiPS7_
; %bb.0:
	s_clause 0x2
	s_load_b128 s[20:23], s[0:1], 0x20
	s_load_b256 s[12:19], s[0:1], 0x0
	s_load_b64 s[30:31], s[0:1], 0x30
	s_mov_b32 s27, 0
	s_getreg_b32 s33, hwreg(HW_REG_IB_STS2, 6, 4)
	s_add_nc_u64 s[28:29], s[0:1], 56
	s_wait_kmcnt 0x0
	s_and_b32 s2, s23, 3
	s_delay_alu instid0(SALU_CYCLE_1)
	s_cmp_lg_u32 s2, 0
	s_cbranch_scc0 .LBB6_33
; %bb.1:
	s_load_b32 s34, s[0:1], 0x38
	s_bfe_u32 s2, ttmp6, 0x4000c
	s_and_b32 s3, ttmp6, 15
	s_add_co_i32 s2, s2, 1
	v_mov_b32_e32 v4, 0
	s_mul_i32 s2, ttmp9, s2
	s_mov_b32 s4, s23
	s_add_co_i32 s3, s3, s2
	s_cmp_eq_u32 s33, 0
	v_cmp_gt_u32_e64 s2, s23, v0
	s_cselect_b32 s26, ttmp9, s3
	s_ashr_i32 s5, s23, 31
	s_delay_alu instid0(SALU_CYCLE_1)
	s_mul_u64 s[24:25], s[4:5], s[26:27]
	s_and_saveexec_b32 s3, s2
	s_cbranch_execz .LBB6_5
; %bb.2:
	s_wait_kmcnt 0x0
	s_cmp_lt_u32 s26, s34
	s_mov_b32 s5, 0
	s_cselect_b32 s4, 12, 18
	v_dual_mov_b32 v3, 0 :: v_dual_mov_b32 v4, 0
	s_add_nc_u64 s[6:7], s[28:29], s[4:5]
	v_mov_b32_e32 v2, v0
	s_load_u16 s4, s[6:7], 0x0
.LBB6_3:                                ; =>This Inner Loop Header: Depth=1
	s_delay_alu instid0(VALU_DEP_1) | instskip(NEXT) | instid1(VALU_DEP_1)
	v_add_nc_u64_e32 v[6:7], s[24:25], v[2:3]
	v_lshlrev_b64_e32 v[6:7], 1, v[6:7]
	s_delay_alu instid0(VALU_DEP_1)
	v_add_nc_u64_e32 v[8:9], s[16:17], v[6:7]
	v_add_nc_u64_e32 v[6:7], s[30:31], v[6:7]
	global_load_u16 v1, v[8:9], off
	global_load_u16 v5, v[6:7], off
	s_wait_loadcnt 0x1
	v_cvt_f32_f16_e32 v1, v1
	s_wait_loadcnt 0x0
	v_cvt_f32_f16_e32 v5, v5
	s_wait_kmcnt 0x0
	s_delay_alu instid0(VALU_DEP_1) | instskip(NEXT) | instid1(VALU_DEP_1)
	v_dual_add_f32 v1, v1, v5 :: v_dual_add_nc_u32 v2, s4, v2
	v_cmp_le_u32_e32 vcc_lo, s23, v2
	s_delay_alu instid0(VALU_DEP_2) | instskip(SKIP_1) | instid1(SALU_CYCLE_1)
	v_fmac_f32_e32 v4, v1, v1
	s_or_b32 s5, vcc_lo, s5
	s_and_not1_b32 exec_lo, exec_lo, s5
	s_cbranch_execnz .LBB6_3
; %bb.4:
	s_or_b32 exec_lo, exec_lo, s5
.LBB6_5:
	s_delay_alu instid0(SALU_CYCLE_1) | instskip(SKIP_3) | instid1(VALU_DEP_2)
	s_or_b32 exec_lo, exec_lo, s3
	v_mbcnt_lo_u32_b32 v1, -1, 0
	s_load_b32 s3, s[28:29], 0xc
	v_and_b32_e32 v3, 0x3c0, v0
	v_cmp_ne_u32_e32 vcc_lo, 63, v1
	v_cmp_eq_u32_e64 s8, 0, v1
	v_dual_add_nc_u32 v5, 1, v1 :: v_dual_lshlrev_b32 v8, 2, v1
	v_add_co_ci_u32_e64 v2, null, 0, v1, vcc_lo
	v_cmp_gt_u32_e32 vcc_lo, 62, v1
	s_delay_alu instid0(VALU_DEP_2)
	v_lshlrev_b32_e32 v7, 2, v2
	v_cndmask_b32_e64 v6, 0, 2, vcc_lo
	v_cmp_gt_u32_e32 vcc_lo, 60, v1
	ds_bpermute_b32 v2, v7, v4
	s_wait_kmcnt 0x0
	s_and_b32 s36, s3, 0xffff
	v_add_lshl_u32 v9, v6, v1, 2
	v_sub_nc_u32_e64 v3, s36, v3 clamp
	v_add_nc_u32_e32 v6, 2, v1
	s_delay_alu instid0(VALU_DEP_2) | instskip(NEXT) | instid1(VALU_DEP_2)
	v_cmp_lt_u32_e64 s3, v5, v3
	v_cmp_lt_u32_e64 s4, v6, v3
	v_add_nc_u32_e32 v6, 4, v1
	v_cndmask_b32_e64 v5, 0, 4, vcc_lo
	v_cmp_gt_u32_e32 vcc_lo, 56, v1
	s_delay_alu instid0(VALU_DEP_3) | instskip(NEXT) | instid1(VALU_DEP_3)
	v_cmp_lt_u32_e64 s5, v6, v3
	v_add_lshl_u32 v10, v5, v1, 2
	v_cndmask_b32_e64 v5, 0, 8, vcc_lo
	v_cmp_gt_u32_e32 vcc_lo, 48, v1
	s_wait_dscnt 0x0
	v_dual_add_nc_u32 v6, 8, v1 :: v_dual_add_f32 v2, v4, v2
	s_delay_alu instid0(VALU_DEP_3) | instskip(SKIP_1) | instid1(VALU_DEP_3)
	v_add_lshl_u32 v11, v5, v1, 2
	v_cndmask_b32_e64 v5, 0, 16, vcc_lo
	v_cmp_lt_u32_e64 s6, v6, v3
	s_delay_alu instid0(VALU_DEP_4) | instskip(NEXT) | instid1(VALU_DEP_3)
	v_cndmask_b32_e64 v2, v4, v2, s3
	v_add_lshl_u32 v12, v5, v1, 2
	v_add_nc_u32_e32 v5, 16, v1
	ds_bpermute_b32 v4, v9, v2
	v_cmp_lt_u32_e64 s7, v5, v3
	v_or_b32_e32 v5, 32, v1
	s_delay_alu instid0(VALU_DEP_1) | instskip(SKIP_2) | instid1(VALU_DEP_1)
	v_cmp_lt_u32_e64 s10, v5, v3
	s_wait_dscnt 0x0
	v_add_f32_e32 v4, v2, v4
	v_cndmask_b32_e64 v2, v2, v4, s4
	ds_bpermute_b32 v4, v10, v2
	s_wait_dscnt 0x0
	v_add_f32_e32 v4, v2, v4
	s_delay_alu instid0(VALU_DEP_1) | instskip(SKIP_3) | instid1(VALU_DEP_1)
	v_cndmask_b32_e64 v2, v2, v4, s5
	ds_bpermute_b32 v4, v11, v2
	s_wait_dscnt 0x0
	v_add_f32_e32 v4, v2, v4
	v_cndmask_b32_e64 v2, v2, v4, s6
	ds_bpermute_b32 v4, v12, v2
	s_wait_dscnt 0x0
	v_add_f32_e32 v4, v2, v4
	s_delay_alu instid0(VALU_DEP_1) | instskip(SKIP_3) | instid1(VALU_DEP_1)
	v_cndmask_b32_e64 v2, v2, v4, s7
	ds_bpermute_b32 v4, v8, v2 offset:128
	s_wait_dscnt 0x0
	v_add_f32_e32 v4, v2, v4
	v_cndmask_b32_e64 v2, v2, v4, s10
	s_and_saveexec_b32 s9, s8
; %bb.6:
	v_lshrrev_b32_e32 v3, 4, v0
	s_delay_alu instid0(VALU_DEP_1)
	v_and_b32_e32 v3, 60, v3
	ds_store_b32 v3, v2 offset:128
; %bb.7:
	s_or_b32 exec_lo, exec_lo, s9
	v_cmp_gt_u32_e64 s9, 16, v0
	v_and_b32_e32 v4, 15, v1
	v_or_b32_e32 v5, 32, v8
	s_wait_dscnt 0x0
	s_barrier_signal -1
	s_barrier_wait -1
	s_and_saveexec_b32 s35, s9
	s_cbranch_execz .LBB6_9
; %bb.8:
	ds_load_b32 v2, v8 offset:128
	v_cmp_ne_u32_e32 vcc_lo, 15, v4
	s_add_co_i32 s11, s36, 63
	v_add_nc_u32_e32 v13, 1, v4
	s_lshr_b32 s37, s11, 6
	v_cmp_gt_u32_e64 s11, 12, v4
	v_add_co_ci_u32_e64 v3, null, 0, v1, vcc_lo
	v_cmp_gt_u32_e32 vcc_lo, 14, v4
	s_delay_alu instid0(VALU_DEP_3) | instskip(NEXT) | instid1(VALU_DEP_3)
	v_cndmask_b32_e64 v14, 0, 4, s11
	v_lshlrev_b32_e32 v3, 2, v3
	v_cndmask_b32_e64 v6, 0, 2, vcc_lo
	v_cmp_gt_u32_e32 vcc_lo, s37, v13
	v_add_nc_u32_e32 v13, 2, v4
	s_delay_alu instid0(VALU_DEP_3)
	v_add_lshl_u32 v6, v6, v1, 2
	s_wait_dscnt 0x0
	ds_bpermute_b32 v3, v3, v2
	v_cmp_gt_u32_e64 s11, s37, v13
	s_wait_dscnt 0x0
	v_dual_add_nc_u32 v13, 4, v4 :: v_dual_add_f32 v3, v2, v3
	s_delay_alu instid0(VALU_DEP_1) | instskip(SKIP_3) | instid1(VALU_DEP_1)
	v_cndmask_b32_e32 v3, v2, v3, vcc_lo
	ds_bpermute_b32 v6, v6, v3
	s_wait_dscnt 0x0
	v_add_f32_e32 v6, v3, v6
	v_cndmask_b32_e64 v3, v3, v6, s11
	v_add_lshl_u32 v6, v14, v1, 2
	v_cmp_gt_u32_e64 s11, s37, v13
	v_add_nc_u32_e32 v13, 8, v4
	ds_bpermute_b32 v6, v6, v3
	s_wait_dscnt 0x0
	v_add_f32_e32 v6, v3, v6
	s_delay_alu instid0(VALU_DEP_1) | instskip(SKIP_4) | instid1(VALU_DEP_1)
	v_cndmask_b32_e64 v3, v3, v6, s11
	v_cmp_gt_u32_e64 s11, s37, v13
	ds_bpermute_b32 v6, v5, v3
	s_wait_dscnt 0x0
	v_add_f32_e32 v6, v3, v6
	v_cndmask_b32_e64 v3, v3, v6, s11
	s_delay_alu instid0(VALU_DEP_1)
	v_cndmask_b32_e32 v2, v2, v3, vcc_lo
.LBB6_9:
	s_or_b32 exec_lo, exec_lo, s35
	v_cmp_eq_u32_e64 s11, 0, v0
	s_and_saveexec_b32 s35, s11
	s_cbranch_execz .LBB6_11
; %bb.10:
	s_cvt_f32_i32 s37, s23
	s_delay_alu instid0(SALU_CYCLE_3) | instskip(SKIP_1) | instid1(VALU_DEP_2)
	v_div_scale_f32 v3, null, s37, s37, v2
	v_div_scale_f32 v14, vcc_lo, v2, s37, v2
	v_rcp_f32_e32 v6, v3
	v_nop
	s_delay_alu instid0(TRANS32_DEP_1) | instskip(NEXT) | instid1(VALU_DEP_1)
	v_fma_f32 v13, -v3, v6, 1.0
	v_fmac_f32_e32 v6, v13, v6
	s_delay_alu instid0(VALU_DEP_1) | instskip(NEXT) | instid1(VALU_DEP_1)
	v_mul_f32_e32 v13, v14, v6
	v_fma_f32 v15, -v3, v13, v14
	s_delay_alu instid0(VALU_DEP_1) | instskip(NEXT) | instid1(VALU_DEP_1)
	v_fmac_f32_e32 v13, v15, v6
	v_fma_f32 v3, -v3, v13, v14
	s_delay_alu instid0(VALU_DEP_1) | instskip(NEXT) | instid1(VALU_DEP_1)
	v_div_fmas_f32 v3, v3, v6, v13
	v_div_fixup_f32 v2, v3, s37, v2
	s_delay_alu instid0(VALU_DEP_1) | instskip(NEXT) | instid1(VALU_DEP_1)
	v_add_f32_e32 v2, s22, v2
	v_mul_f32_e32 v3, 0x4b800000, v2
	v_cmp_gt_f32_e32 vcc_lo, 0x800000, v2
	s_delay_alu instid0(VALU_DEP_2) | instskip(NEXT) | instid1(VALU_DEP_1)
	v_cndmask_b32_e32 v2, v2, v3, vcc_lo
	v_rsq_f32_e32 v2, v2
	v_nop
	s_delay_alu instid0(TRANS32_DEP_1) | instskip(NEXT) | instid1(VALU_DEP_1)
	v_mul_f32_e32 v3, 0x45800000, v2
	v_dual_cndmask_b32 v2, v2, v3 :: v_dual_mov_b32 v3, 0
	ds_store_b32 v3, v2 offset:264
.LBB6_11:
	s_or_b32 exec_lo, exec_lo, s35
	v_mov_b32_e32 v13, 0
	s_wait_dscnt 0x0
	s_barrier_signal -1
	s_barrier_wait -1
	ds_load_b32 v6, v13 offset:264
	s_and_saveexec_b32 s37, s2
	s_cbranch_execz .LBB6_15
; %bb.12:
	s_cmp_lt_u32 s26, s34
	s_mov_b32 s35, 0
	s_cselect_b32 s34, 12, 18
	v_dual_mov_b32 v3, 0 :: v_dual_mov_b32 v13, 0
	s_add_nc_u64 s[38:39], s[28:29], s[34:35]
	v_mov_b32_e32 v2, v0
	s_load_u16 s34, s[38:39], 0x0
.LBB6_13:                               ; =>This Inner Loop Header: Depth=1
	s_delay_alu instid0(VALU_DEP_1) | instskip(NEXT) | instid1(VALU_DEP_2)
	v_add_nc_u64_e32 v[14:15], s[24:25], v[2:3]
	v_max_num_f32_e32 v13, v13, v13
	s_delay_alu instid0(VALU_DEP_2) | instskip(NEXT) | instid1(VALU_DEP_1)
	v_lshlrev_b64_e32 v[14:15], 1, v[14:15]
	v_add_nc_u64_e32 v[16:17], s[16:17], v[14:15]
	v_add_nc_u64_e32 v[14:15], s[30:31], v[14:15]
	global_load_u16 v18, v[16:17], off
	global_load_u16 v19, v[14:15], off
	global_load_u16 v20, v2, s[18:19] scale_offset
	s_wait_kmcnt 0x0
	v_add_nc_u32_e32 v2, s34, v2
	s_delay_alu instid0(VALU_DEP_1)
	v_cmp_le_u32_e32 vcc_lo, s23, v2
	s_or_b32 s35, vcc_lo, s35
	s_wait_loadcnt 0x2
	v_cvt_f32_f16_e32 v14, v18
	s_wait_loadcnt 0x1
	v_cvt_f32_f16_e32 v15, v19
	s_delay_alu instid0(VALU_DEP_1) | instskip(SKIP_1) | instid1(VALU_DEP_1)
	v_add_f32_e32 v14, v14, v15
	s_wait_dscnt 0x0
	v_fma_mixlo_f16 v14, v6, v14, 0
	s_wait_loadcnt 0x0
	s_delay_alu instid0(VALU_DEP_1) | instskip(NEXT) | instid1(VALU_DEP_1)
	v_mul_f16_e32 v14, v20, v14
	v_cvt_f32_f16_e64 v14, |v14|
	s_delay_alu instid0(VALU_DEP_1)
	v_max_num_f32_e32 v13, v13, v14
	s_and_not1_b32 exec_lo, exec_lo, s35
	s_cbranch_execnz .LBB6_13
; %bb.14:
	s_or_b32 exec_lo, exec_lo, s35
.LBB6_15:
	s_delay_alu instid0(SALU_CYCLE_1)
	s_or_b32 exec_lo, exec_lo, s37
	ds_bpermute_b32 v3, v7, v13
	v_or_b32_e32 v2, 0x80, v8
	s_wait_dscnt 0x0
	v_cmp_lt_f32_e32 vcc_lo, v13, v3
	v_cndmask_b32_e32 v3, v13, v3, vcc_lo
	s_delay_alu instid0(VALU_DEP_1) | instskip(SKIP_1) | instid1(SALU_CYCLE_1)
	v_cndmask_b32_e64 v3, v13, v3, s3
	s_or_b32 s3, s3, s4
	s_or_b32 s3, s5, s3
	s_delay_alu instid0(SALU_CYCLE_1)
	s_or_b32 s3, s6, s3
	ds_bpermute_b32 v7, v9, v3
	s_or_b32 s3, s7, s3
	s_wait_dscnt 0x0
	v_cmp_lt_f32_e32 vcc_lo, v3, v7
	v_cndmask_b32_e32 v7, v3, v7, vcc_lo
	s_delay_alu instid0(VALU_DEP_1) | instskip(SKIP_4) | instid1(VALU_DEP_1)
	v_cndmask_b32_e64 v3, v3, v7, s4
	ds_bpermute_b32 v7, v10, v3
	s_wait_dscnt 0x0
	v_cmp_lt_f32_e32 vcc_lo, v3, v7
	v_cndmask_b32_e32 v7, v3, v7, vcc_lo
	v_cndmask_b32_e64 v3, v3, v7, s5
	ds_bpermute_b32 v7, v11, v3
	s_wait_dscnt 0x0
	v_cmp_lt_f32_e32 vcc_lo, v3, v7
	v_cndmask_b32_e32 v7, v3, v7, vcc_lo
	s_delay_alu instid0(VALU_DEP_1) | instskip(SKIP_4) | instid1(VALU_DEP_1)
	v_cndmask_b32_e64 v3, v3, v7, s6
	ds_bpermute_b32 v7, v12, v3
	s_wait_dscnt 0x0
	v_cmp_lt_f32_e32 vcc_lo, v3, v7
	v_cndmask_b32_e32 v7, v3, v7, vcc_lo
	v_cndmask_b32_e64 v3, v3, v7, s7
	ds_bpermute_b32 v2, v2, v3
	s_wait_dscnt 0x0
	v_cmp_lt_f32_e32 vcc_lo, v3, v2
	s_and_b32 vcc_lo, s10, vcc_lo
	v_cndmask_b32_e32 v2, v3, v2, vcc_lo
	s_or_b32 vcc_lo, s10, s3
	s_delay_alu instid0(VALU_DEP_1)
	v_cndmask_b32_e32 v2, v13, v2, vcc_lo
	s_and_saveexec_b32 s3, s8
; %bb.16:
	v_lshrrev_b32_e32 v3, 4, v0
	s_delay_alu instid0(VALU_DEP_1)
	v_and_b32_e32 v3, 60, v3
	ds_store_b32 v3, v2 offset:192
; %bb.17:
	s_or_b32 exec_lo, exec_lo, s3
	s_wait_dscnt 0x0
	s_barrier_signal -1
	s_barrier_wait -1
	s_and_saveexec_b32 s5, s9
	s_cbranch_execz .LBB6_19
; %bb.18:
	ds_load_b32 v2, v8 offset:192
	v_cmp_ne_u32_e32 vcc_lo, 15, v4
	s_add_co_i32 s3, s36, 63
	v_add_nc_u32_e32 v7, 1, v4
	s_lshr_b32 s4, s3, 6
	v_cmp_gt_u32_e64 s3, 12, v4
	v_add_co_ci_u32_e64 v3, null, 0, v1, vcc_lo
	v_cmp_gt_u32_e32 vcc_lo, 14, v4
	s_delay_alu instid0(VALU_DEP_3) | instskip(NEXT) | instid1(VALU_DEP_3)
	v_cndmask_b32_e64 v9, 0, 4, s3
	v_lshlrev_b32_e32 v3, 2, v3
	v_cndmask_b32_e64 v8, 0, 2, vcc_lo
	s_delay_alu instid0(VALU_DEP_1) | instskip(NEXT) | instid1(VALU_DEP_4)
	v_add_lshl_u32 v8, v8, v1, 2
	v_add_lshl_u32 v1, v9, v1, 2
	s_wait_dscnt 0x0
	ds_bpermute_b32 v3, v3, v2
	s_wait_dscnt 0x0
	v_cmp_lt_f32_e32 vcc_lo, v2, v3
	v_cndmask_b32_e32 v3, v2, v3, vcc_lo
	v_cmp_gt_u32_e32 vcc_lo, s4, v7
	s_delay_alu instid0(VALU_DEP_2) | instskip(SKIP_4) | instid1(VALU_DEP_1)
	v_cndmask_b32_e32 v3, v2, v3, vcc_lo
	ds_bpermute_b32 v7, v8, v3
	v_add_nc_u32_e32 v8, 2, v4
	s_wait_dscnt 0x0
	v_cmp_lt_f32_e64 s3, v3, v7
	v_cndmask_b32_e64 v7, v3, v7, s3
	s_delay_alu instid0(VALU_DEP_3) | instskip(NEXT) | instid1(VALU_DEP_1)
	v_cmp_gt_u32_e64 s3, s4, v8
	v_dual_cndmask_b32 v3, v3, v7, s3 :: v_dual_add_nc_u32 v7, 4, v4
	v_add_nc_u32_e32 v4, 8, v4
	ds_bpermute_b32 v1, v1, v3
	s_wait_dscnt 0x0
	v_cmp_lt_f32_e64 s3, v3, v1
	s_delay_alu instid0(VALU_DEP_1) | instskip(SKIP_1) | instid1(VALU_DEP_1)
	v_cndmask_b32_e64 v1, v3, v1, s3
	v_cmp_gt_u32_e64 s3, s4, v7
	v_cndmask_b32_e64 v1, v3, v1, s3
	v_cmp_gt_u32_e64 s3, s4, v4
	ds_bpermute_b32 v3, v5, v1
	s_wait_dscnt 0x0
	v_cmp_lt_f32_e64 s4, v1, v3
	s_and_b32 s3, s3, s4
	s_delay_alu instid0(SALU_CYCLE_1) | instskip(NEXT) | instid1(VALU_DEP_1)
	v_cndmask_b32_e64 v1, v1, v3, s3
	v_cndmask_b32_e32 v2, v2, v1, vcc_lo
.LBB6_19:
	s_or_b32 exec_lo, exec_lo, s5
	s_and_saveexec_b32 s3, s11
	s_cbranch_execz .LBB6_23
; %bb.20:
	s_cmp_eq_u64 s[20:21], 0
	s_cbranch_scc1 .LBB6_22
; %bb.21:
	s_load_b32 s4, s[20:21], 0x0
	v_max_num_f32_e32 v1, v2, v2
	s_wait_kmcnt 0x0
	v_max_num_f32_e64 v2, s4, s4
	s_delay_alu instid0(VALU_DEP_1)
	v_min_num_f32_e32 v2, v1, v2
.LBB6_22:
	s_delay_alu instid0(VALU_DEP_1)
	v_div_scale_f32 v1, null, 0x43e00000, 0x43e00000, v2
	v_div_scale_f32 v5, vcc_lo, v2, 0x43e00000, v2
	s_lshl_b64 s[4:5], s[26:27], 2
	v_rcp_f32_e32 v3, v1
	s_add_nc_u64 s[4:5], s[14:15], s[4:5]
	v_nop
	s_delay_alu instid0(TRANS32_DEP_1) | instskip(NEXT) | instid1(VALU_DEP_1)
	v_fma_f32 v4, -v1, v3, 1.0
	v_fmac_f32_e32 v3, v4, v3
	s_delay_alu instid0(VALU_DEP_1) | instskip(NEXT) | instid1(VALU_DEP_1)
	v_mul_f32_e32 v4, v5, v3
	v_fma_f32 v7, -v1, v4, v5
	s_delay_alu instid0(VALU_DEP_1) | instskip(NEXT) | instid1(VALU_DEP_1)
	v_fmac_f32_e32 v4, v7, v3
	v_fma_f32 v1, -v1, v4, v5
	s_delay_alu instid0(VALU_DEP_1) | instskip(NEXT) | instid1(VALU_DEP_1)
	v_div_fmas_f32 v1, v1, v3, v4
	v_div_fixup_f32 v1, v1, 0x43e00000, v2
	s_delay_alu instid0(VALU_DEP_1)
	v_dual_mov_b32 v2, 0 :: v_dual_max_num_f32 v1, 0x36924925, v1
	ds_store_b32 v2, v1 offset:268
	global_store_b32 v2, v1, s[4:5]
.LBB6_23:
	s_wait_xcnt 0x0
	s_or_b32 exec_lo, exec_lo, s3
	s_wait_storecnt_dscnt 0x0
	s_barrier_signal -1
	s_barrier_wait -1
	s_and_saveexec_b32 s3, s2
	s_cbranch_execz .LBB6_32
; %bb.24:
	v_dual_mov_b32 v3, 0 :: v_dual_mov_b32 v2, v0
	s_mov_b32 s2, 0
	s_mov_b32 s4, 0x43e00000
	ds_load_b32 v1, v3 offset:268
	s_branch .LBB6_27
.LBB6_25:                               ;   in Loop: Header=BB6_27 Depth=1
	s_or_b32 exec_lo, exec_lo, s6
.LBB6_26:                               ;   in Loop: Header=BB6_27 Depth=1
	s_delay_alu instid0(SALU_CYCLE_1) | instskip(SKIP_2) | instid1(VALU_DEP_2)
	s_or_b32 exec_lo, exec_lo, s5
	v_dual_add_nc_u32 v2, s36, v2 :: v_dual_lshrrev_b32 v7, 24, v7
	v_add_nc_u64_e32 v[4:5], s[12:13], v[4:5]
	v_cmp_le_u32_e32 vcc_lo, s23, v2
	s_delay_alu instid0(VALU_DEP_3)
	v_and_or_b32 v7, 0x80, v7, v8
	s_or_b32 s2, vcc_lo, s2
	global_store_b8 v[4:5], v7, off
	s_wait_xcnt 0x0
	s_and_not1_b32 exec_lo, exec_lo, s2
	s_cbranch_execz .LBB6_32
.LBB6_27:                               ; =>This Inner Loop Header: Depth=1
	v_add_nc_u64_e32 v[4:5], s[24:25], v[2:3]
	s_mov_b32 s5, exec_lo
	s_delay_alu instid0(VALU_DEP_1) | instskip(NEXT) | instid1(VALU_DEP_1)
	v_lshlrev_b64_e32 v[8:9], 1, v[4:5]
	v_add_nc_u64_e32 v[10:11], s[16:17], v[8:9]
	v_add_nc_u64_e32 v[12:13], s[30:31], v[8:9]
	global_load_u16 v7, v[10:11], off
	global_load_u16 v8, v[12:13], off
	global_load_u16 v9, v2, s[18:19] scale_offset
	s_wait_loadcnt 0x2
	v_cvt_f32_f16_e32 v7, v7
	s_wait_loadcnt 0x1
	v_cvt_f32_f16_e32 v8, v8
	s_delay_alu instid0(VALU_DEP_1) | instskip(NEXT) | instid1(VALU_DEP_1)
	v_add_f32_e32 v8, v7, v8
	v_fma_mixlo_f16 v7, v6, v8, 0
	s_wait_loadcnt 0x0
	s_delay_alu instid0(VALU_DEP_1) | instskip(NEXT) | instid1(VALU_DEP_1)
	v_mul_f16_e32 v7, v9, v7
	v_cvt_f32_f16_e32 v7, v7
	s_wait_dscnt 0x0
	s_delay_alu instid0(VALU_DEP_1) | instskip(SKIP_2) | instid1(VALU_DEP_2)
	v_div_scale_f32 v9, null, v1, v1, v7
	v_div_scale_f32 v14, vcc_lo, v7, v1, v7
	s_wait_xcnt 0x2
	v_rcp_f32_e32 v10, v9
	v_nop
	s_delay_alu instid0(TRANS32_DEP_1) | instskip(NEXT) | instid1(VALU_DEP_1)
	v_fma_f32 v11, -v9, v10, 1.0
	v_fmac_f32_e32 v10, v11, v10
	s_delay_alu instid0(VALU_DEP_1) | instskip(NEXT) | instid1(VALU_DEP_1)
	v_mul_f32_e32 v11, v14, v10
	v_fma_f32 v15, -v9, v11, v14
	s_delay_alu instid0(VALU_DEP_1) | instskip(NEXT) | instid1(VALU_DEP_1)
	v_fmac_f32_e32 v11, v15, v10
	v_fma_f32 v9, -v9, v11, v14
	s_delay_alu instid0(VALU_DEP_1) | instskip(SKIP_2) | instid1(VALU_DEP_3)
	v_div_fmas_f32 v9, v9, v10, v11
	v_cvt_f16_f32_e32 v10, v8
	v_mov_b32_e32 v8, 0x7f
	v_div_fixup_f32 v7, v9, v1, v7
	global_store_b16 v[12:13], v10, off
	v_minmax_num_f32 v7, v7, s4, 0xc3e00000
	s_delay_alu instid0(VALU_DEP_1) | instskip(SKIP_1) | instid1(VALU_DEP_1)
	v_and_b32_e32 v9, 0x7fffffff, v7
	s_wait_xcnt 0x0
	v_cmpx_gt_u32_e32 0x43f00000, v9
	s_cbranch_execz .LBB6_26
; %bb.28:                               ;   in Loop: Header=BB6_27 Depth=1
	s_mov_b32 s6, exec_lo
                                        ; implicit-def: $vgpr8
	v_cmpx_lt_u32_e32 0x3c7fffff, v9
	s_xor_b32 s6, exec_lo, s6
; %bb.29:                               ;   in Loop: Header=BB6_27 Depth=1
	v_bfe_u32 v8, v7, 20, 1
	s_delay_alu instid0(VALU_DEP_1) | instskip(NEXT) | instid1(VALU_DEP_1)
	v_add3_u32 v8, v7, v8, 0x407ffff
	v_lshrrev_b32_e32 v8, 20, v8
; %bb.30:                               ;   in Loop: Header=BB6_27 Depth=1
	s_and_not1_saveexec_b32 s6, s6
	s_cbranch_execz .LBB6_25
; %bb.31:                               ;   in Loop: Header=BB6_27 Depth=1
	v_add_f32_e64 v8, 0x46800000, |v7|
	s_branch .LBB6_25
.LBB6_32:
	s_or_b32 exec_lo, exec_lo, s3
	s_branch .LBB6_173
.LBB6_33:
	s_cbranch_execz .LBB6_173
; %bb.34:
	s_load_b32 s1, s[0:1], 0x38
	s_bfe_u32 s2, ttmp6, 0x4000c
	s_wait_xcnt 0x0
	s_and_b32 s0, ttmp6, 15
	s_add_co_i32 s2, s2, 1
	s_mov_b32 s27, 0
	s_mul_i32 s2, ttmp9, s2
	v_mov_b32_e32 v2, 0
	s_add_co_i32 s0, s0, s2
	s_cmp_eq_u32 s33, 0
	s_mov_b32 s2, s23
	s_cselect_b32 s26, ttmp9, s0
	s_ashr_i32 s3, s23, 31
	s_ashr_i32 s33, s23, 2
	s_mul_u64 s[24:25], s[2:3], s[26:27]
	v_cmp_gt_u32_e64 s0, s33, v0
	s_lshl_b64 s[2:3], s[24:25], 1
	s_delay_alu instid0(SALU_CYCLE_1)
	s_add_nc_u64 s[10:11], s[16:17], s[2:3]
	s_add_nc_u64 s[16:17], s[30:31], s[2:3]
	s_and_saveexec_b32 s2, s0
	s_cbranch_execz .LBB6_44
; %bb.35:
	s_wait_kmcnt 0x0
	s_cmp_lt_u32 s26, s1
	s_mov_b32 s5, s27
	s_cselect_b32 s4, 12, 18
	v_dual_mov_b32 v2, 0 :: v_dual_mov_b32 v1, v0
	s_add_nc_u64 s[4:5], s[28:29], s[4:5]
	s_mov_b32 s6, s27
	s_load_u16 s3, s[4:5], 0x0
                                        ; implicit-def: $sgpr8
	s_wait_kmcnt 0x0
	s_lshl_b32 s4, s3, 1
	s_mul_i32 s5, s3, 3
	s_add_co_i32 s7, s3, s3
	s_branch .LBB6_39
.LBB6_36:                               ;   in Loop: Header=BB6_39 Depth=1
	s_or_b32 exec_lo, exec_lo, s31
	s_delay_alu instid0(SALU_CYCLE_1)
	s_or_not1_b32 s31, s34, exec_lo
.LBB6_37:                               ;   in Loop: Header=BB6_39 Depth=1
	s_or_b32 exec_lo, exec_lo, s30
	s_delay_alu instid0(SALU_CYCLE_1) | instskip(SKIP_1) | instid1(SALU_CYCLE_1)
	s_and_not1_b32 s8, s8, exec_lo
	s_and_b32 s30, s31, exec_lo
	s_or_b32 s8, s8, s30
.LBB6_38:                               ;   in Loop: Header=BB6_39 Depth=1
	s_or_b32 exec_lo, exec_lo, s9
	s_delay_alu instid0(SALU_CYCLE_1) | instskip(NEXT) | instid1(SALU_CYCLE_1)
	s_and_b32 s9, exec_lo, s8
	s_or_b32 s6, s9, s6
	s_delay_alu instid0(SALU_CYCLE_1)
	s_and_not1_b32 exec_lo, exec_lo, s6
	s_cbranch_execz .LBB6_43
.LBB6_39:                               ; =>This Inner Loop Header: Depth=1
	s_clause 0x1
	global_load_b64 v[4:5], v1, s[10:11] scale_offset
	global_load_b64 v[6:7], v1, s[16:17] scale_offset
	s_or_b32 s8, s8, exec_lo
	s_mov_b32 s9, exec_lo
	s_wait_loadcnt 0x0
	v_dual_lshrrev_b32 v3, 16, v4 :: v_dual_lshrrev_b32 v11, 16, v6
	v_cvt_f32_f16_e32 v8, v4
	v_cvt_f32_f16_e32 v10, v6
	v_cvt_f32_f16_e32 v4, v5
	s_delay_alu instid0(VALU_DEP_4) | instskip(SKIP_3) | instid1(VALU_DEP_3)
	v_cvt_f32_f16_e32 v9, v3
	v_cvt_f32_f16_e32 v11, v11
	v_dual_lshrrev_b32 v3, 16, v5 :: v_dual_lshrrev_b32 v12, 16, v7
	v_cvt_f32_f16_e32 v6, v7
	v_pk_add_f32 v[8:9], v[8:9], v[10:11]
	s_delay_alu instid0(VALU_DEP_3) | instskip(NEXT) | instid1(VALU_DEP_4)
	v_cvt_f32_f16_e32 v5, v3
	v_cvt_f32_f16_e32 v7, v12
	v_add_nc_u32_e32 v3, s3, v1
	s_delay_alu instid0(VALU_DEP_4) | instskip(NEXT) | instid1(VALU_DEP_3)
	v_pk_mul_f32 v[8:9], v[8:9], v[8:9]
	v_pk_add_f32 v[4:5], v[4:5], v[6:7]
	s_delay_alu instid0(VALU_DEP_2) | instskip(NEXT) | instid1(VALU_DEP_2)
	v_add_f32_e32 v2, v2, v8
	v_pk_mul_f32 v[4:5], v[4:5], v[4:5]
	s_delay_alu instid0(VALU_DEP_2) | instskip(NEXT) | instid1(VALU_DEP_1)
	v_add_f32_e32 v2, v2, v9
	v_add_f32_e32 v2, v2, v4
	s_delay_alu instid0(VALU_DEP_1)
	v_add_f32_e32 v2, v2, v5
	s_wait_xcnt 0x0
	v_cmpx_gt_u32_e64 s33, v3
	s_cbranch_execz .LBB6_38
; %bb.40:                               ;   in Loop: Header=BB6_39 Depth=1
	s_clause 0x1
	global_load_b64 v[4:5], v3, s[10:11] scale_offset
	global_load_b64 v[6:7], v3, s[16:17] scale_offset
	s_mov_b32 s31, -1
	s_mov_b32 s30, exec_lo
	s_wait_loadcnt 0x0
	v_dual_lshrrev_b32 v9, 16, v4 :: v_dual_lshrrev_b32 v11, 16, v6
	v_cvt_f32_f16_e32 v8, v4
	v_cvt_f32_f16_e32 v10, v6
	v_dual_lshrrev_b32 v12, 16, v5 :: v_dual_lshrrev_b32 v13, 16, v7
	s_delay_alu instid0(VALU_DEP_4)
	v_cvt_f32_f16_e32 v9, v9
	v_cvt_f32_f16_e32 v11, v11
	;; [unrolled: 1-line block ×6, first 2 shown]
	v_pk_add_f32 v[8:9], v[8:9], v[10:11]
	s_delay_alu instid0(VALU_DEP_2) | instskip(NEXT) | instid1(VALU_DEP_2)
	v_pk_add_f32 v[4:5], v[4:5], v[6:7]
	v_pk_mul_f32 v[8:9], v[8:9], v[8:9]
	s_delay_alu instid0(VALU_DEP_2) | instskip(NEXT) | instid1(VALU_DEP_2)
	v_pk_mul_f32 v[4:5], v[4:5], v[4:5]
	v_add_f32_e32 v2, v2, v8
	s_delay_alu instid0(VALU_DEP_1) | instskip(NEXT) | instid1(VALU_DEP_1)
	v_add_f32_e32 v2, v2, v9
	v_dual_add_f32 v2, v2, v4 :: v_dual_add_nc_u32 v4, s4, v1
	s_delay_alu instid0(VALU_DEP_1) | instskip(SKIP_1) | instid1(VALU_DEP_2)
	v_add_f32_e32 v2, v2, v5
	s_wait_xcnt 0x0
	v_cmpx_gt_u32_e64 s33, v4
	s_cbranch_execz .LBB6_37
; %bb.41:                               ;   in Loop: Header=BB6_39 Depth=1
	s_clause 0x1
	global_load_b64 v[6:7], v4, s[10:11] scale_offset
	global_load_b64 v[8:9], v4, s[16:17] scale_offset
	s_mov_b32 s34, -1
	s_mov_b32 s31, exec_lo
	s_wait_loadcnt 0x0
	v_dual_lshrrev_b32 v5, 16, v6 :: v_dual_lshrrev_b32 v11, 16, v8
	s_wait_xcnt 0x0
	v_cvt_f32_f16_e32 v4, v6
	v_cvt_f32_f16_e32 v10, v8
	v_dual_lshrrev_b32 v12, 16, v7 :: v_dual_lshrrev_b32 v13, 16, v9
	v_cvt_f32_f16_e32 v5, v5
	v_cvt_f32_f16_e32 v11, v11
	;; [unrolled: 1-line block ×6, first 2 shown]
	v_pk_add_f32 v[4:5], v[4:5], v[10:11]
	s_delay_alu instid0(VALU_DEP_2) | instskip(NEXT) | instid1(VALU_DEP_2)
	v_pk_add_f32 v[6:7], v[6:7], v[8:9]
	v_pk_mul_f32 v[4:5], v[4:5], v[4:5]
	s_delay_alu instid0(VALU_DEP_2) | instskip(NEXT) | instid1(VALU_DEP_2)
	v_pk_mul_f32 v[6:7], v[6:7], v[6:7]
	v_dual_add_f32 v2, v2, v4 :: v_dual_add_nc_u32 v4, s5, v1
                                        ; implicit-def: $vgpr1
	s_delay_alu instid0(VALU_DEP_1) | instskip(NEXT) | instid1(VALU_DEP_1)
	v_add_f32_e32 v2, v2, v5
	v_add_f32_e32 v2, v2, v6
	s_delay_alu instid0(VALU_DEP_1) | instskip(NEXT) | instid1(VALU_DEP_4)
	v_add_f32_e32 v2, v2, v7
	v_cmpx_gt_u32_e64 s33, v4
	s_xor_b32 s31, exec_lo, s31
	s_cbranch_execz .LBB6_36
; %bb.42:                               ;   in Loop: Header=BB6_39 Depth=1
	s_clause 0x1
	global_load_b64 v[6:7], v4, s[10:11] scale_offset
	global_load_b64 v[8:9], v4, s[16:17] scale_offset
	s_wait_loadcnt 0x0
	v_dual_lshrrev_b32 v1, 16, v6 :: v_dual_lshrrev_b32 v11, 16, v8
	s_wait_xcnt 0x0
	v_cvt_f32_f16_e32 v4, v6
	v_cvt_f32_f16_e32 v10, v8
	;; [unrolled: 1-line block ×5, first 2 shown]
	v_lshrrev_b32_e32 v1, 16, v7
	v_cvt_f32_f16_e32 v8, v9
	s_delay_alu instid0(VALU_DEP_3) | instskip(SKIP_1) | instid1(VALU_DEP_4)
	v_pk_add_f32 v[4:5], v[4:5], v[10:11]
	v_lshrrev_b32_e32 v10, 16, v9
	v_cvt_f32_f16_e32 v7, v1
	s_delay_alu instid0(VALU_DEP_3) | instskip(NEXT) | instid1(VALU_DEP_3)
	v_pk_mul_f32 v[4:5], v[4:5], v[4:5]
	v_cvt_f32_f16_e32 v9, v10
	s_delay_alu instid0(VALU_DEP_2) | instskip(NEXT) | instid1(VALU_DEP_2)
	v_add_f32_e32 v1, v2, v4
	v_pk_add_f32 v[6:7], v[6:7], v[8:9]
	s_delay_alu instid0(VALU_DEP_2) | instskip(NEXT) | instid1(VALU_DEP_2)
	v_add_f32_e32 v2, v1, v5
	v_pk_mul_f32 v[4:5], v[6:7], v[6:7]
	v_add3_u32 v1, s7, s3, v3
	s_delay_alu instid0(VALU_DEP_2) | instskip(NEXT) | instid1(VALU_DEP_2)
	v_add_f32_e32 v2, v2, v4
	v_cmp_le_u32_e32 vcc_lo, s33, v1
	s_delay_alu instid0(VALU_DEP_2)
	v_add_f32_e32 v2, v2, v5
	s_or_not1_b32 s34, vcc_lo, exec_lo
	s_branch .LBB6_36
.LBB6_43:
	s_or_b32 exec_lo, exec_lo, s6
.LBB6_44:
	s_delay_alu instid0(SALU_CYCLE_1)
	s_or_b32 exec_lo, exec_lo, s2
	v_mbcnt_lo_u32_b32 v1, -1, 0
	s_wait_kmcnt 0x0
	s_cmp_lt_u32 s26, s1
	s_mov_b32 s3, 0
	s_cselect_b32 s2, 12, 18
	v_and_b32_e32 v5, 0x3c0, v0
	v_cmp_ne_u32_e32 vcc_lo, 63, v1
	s_add_nc_u64 s[2:3], s[28:29], s[2:3]
	v_cmp_eq_u32_e64 s6, 0, v1
	s_load_u16 s28, s[2:3], 0x0
	v_add_nc_u32_e32 v6, 1, v1
	v_add_co_ci_u32_e64 v3, null, 0, v1, vcc_lo
	v_cmp_gt_u32_e32 vcc_lo, 62, v1
	s_delay_alu instid0(VALU_DEP_2)
	v_lshlrev_b32_e32 v3, 2, v3
	v_cndmask_b32_e64 v7, 0, 2, vcc_lo
	v_cmp_gt_u32_e32 vcc_lo, 60, v1
	ds_bpermute_b32 v4, v3, v2
	s_wait_kmcnt 0x0
	v_sub_nc_u32_e64 v8, s28, v5 clamp
	s_delay_alu instid0(VALU_DEP_1)
	v_cmp_lt_u32_e64 s1, v6, v8
	v_cndmask_b32_e64 v6, 0, 4, vcc_lo
	v_cmp_gt_u32_e32 vcc_lo, 56, v1
	s_wait_dscnt 0x0
	v_add_f32_e32 v5, v2, v4
	v_add_lshl_u32 v4, v7, v1, 2
	v_add_nc_u32_e32 v7, 2, v1
	s_delay_alu instid0(VALU_DEP_3) | instskip(NEXT) | instid1(VALU_DEP_2)
	v_cndmask_b32_e64 v2, v2, v5, s1
	v_cmp_lt_u32_e64 s2, v7, v8
	v_cndmask_b32_e64 v7, 0, 8, vcc_lo
	v_cmp_gt_u32_e32 vcc_lo, 48, v1
	ds_bpermute_b32 v5, v4, v2
	s_wait_dscnt 0x0
	v_add_f32_e32 v9, v2, v5
	v_add_lshl_u32 v5, v6, v1, 2
	s_delay_alu instid0(VALU_DEP_2) | instskip(SKIP_4) | instid1(VALU_DEP_2)
	v_cndmask_b32_e64 v2, v2, v9, s2
	ds_bpermute_b32 v6, v5, v2
	s_wait_dscnt 0x0
	v_dual_add_f32 v10, v2, v6 :: v_dual_add_nc_u32 v9, 4, v1
	v_add_lshl_u32 v6, v7, v1, 2
	v_cmp_lt_u32_e64 s3, v9, v8
	v_cndmask_b32_e64 v9, 0, 16, vcc_lo
	s_delay_alu instid0(VALU_DEP_2) | instskip(SKIP_3) | instid1(VALU_DEP_1)
	v_cndmask_b32_e64 v2, v2, v10, s3
	ds_bpermute_b32 v7, v6, v2
	s_wait_dscnt 0x0
	v_dual_add_f32 v11, v2, v7 :: v_dual_add_nc_u32 v10, 8, v1
	v_cmp_lt_u32_e64 s4, v10, v8
	v_add_lshl_u32 v7, v9, v1, 2
	s_delay_alu instid0(VALU_DEP_2) | instskip(NEXT) | instid1(VALU_DEP_1)
	v_dual_add_nc_u32 v10, 16, v1 :: v_dual_cndmask_b32 v9, v2, v11, s4
	v_cmp_lt_u32_e64 s5, v10, v8
	ds_bpermute_b32 v2, v7, v9
	s_wait_dscnt 0x0
	v_dual_add_f32 v11, v9, v2 :: v_dual_lshlrev_b32 v2, 2, v1
	s_delay_alu instid0(VALU_DEP_1) | instskip(SKIP_3) | instid1(VALU_DEP_1)
	v_cndmask_b32_e64 v9, v9, v11, s5
	ds_bpermute_b32 v10, v2, v9 offset:128
	s_wait_dscnt 0x0
	v_dual_add_f32 v10, v9, v10 :: v_dual_bitop2_b32 v11, 32, v1 bitop3:0x54
	v_cmp_lt_u32_e64 s8, v11, v8
	s_delay_alu instid0(VALU_DEP_1)
	v_cndmask_b32_e64 v8, v9, v10, s8
	s_and_saveexec_b32 s7, s6
; %bb.45:
	v_lshrrev_b32_e32 v9, 4, v0
	s_delay_alu instid0(VALU_DEP_1)
	v_and_b32_e32 v9, 60, v9
	ds_store_b32 v9, v8
; %bb.46:
	s_or_b32 exec_lo, exec_lo, s7
	v_cmp_gt_u32_e64 s7, 16, v0
	s_wait_storecnt_dscnt 0x0
	s_barrier_signal -1
	s_barrier_wait -1
	s_and_saveexec_b32 s29, s7
	s_cbranch_execz .LBB6_48
; %bb.47:
	ds_load_b32 v8, v2
	v_and_b32_e32 v9, 15, v1
	s_add_co_i32 s9, s28, 63
	s_delay_alu instid0(SALU_CYCLE_1) | instskip(NEXT) | instid1(VALU_DEP_1)
	s_lshr_b32 s30, s9, 6
	v_cmp_ne_u32_e32 vcc_lo, 15, v9
	v_add_co_ci_u32_e64 v10, null, 0, v1, vcc_lo
	s_delay_alu instid0(VALU_DEP_1)
	v_lshlrev_b32_e32 v10, 2, v10
	v_cmp_gt_u32_e32 vcc_lo, 14, v9
	v_cmp_gt_u32_e64 s9, 12, v9
	v_add_nc_u32_e32 v13, 2, v9
	s_wait_dscnt 0x0
	ds_bpermute_b32 v10, v10, v8
	v_add_nc_u32_e32 v12, 1, v9
	v_cndmask_b32_e64 v11, 0, 2, vcc_lo
	s_delay_alu instid0(VALU_DEP_1)
	v_add_lshl_u32 v11, v11, v1, 2
	s_wait_dscnt 0x0
	v_add_f32_e32 v10, v8, v10
	v_cmp_gt_u32_e32 vcc_lo, s30, v12
	v_cndmask_b32_e64 v12, 0, 4, s9
	v_cmp_gt_u32_e64 s9, s30, v13
	s_delay_alu instid0(VALU_DEP_4) | instskip(NEXT) | instid1(VALU_DEP_3)
	v_cndmask_b32_e32 v10, v8, v10, vcc_lo
	v_add_lshl_u32 v12, v12, v1, 2
	ds_bpermute_b32 v11, v11, v10
	s_wait_dscnt 0x0
	v_add_f32_e32 v11, v10, v11
	s_delay_alu instid0(VALU_DEP_1) | instskip(SKIP_2) | instid1(VALU_DEP_1)
	v_cndmask_b32_e64 v10, v10, v11, s9
	ds_bpermute_b32 v11, v12, v10
	v_dual_add_nc_u32 v12, 4, v9 :: v_dual_add_nc_u32 v9, 8, v9
	v_cmp_gt_u32_e64 s9, s30, v12
	s_wait_dscnt 0x0
	v_add_f32_e32 v11, v10, v11
	s_delay_alu instid0(VALU_DEP_1) | instskip(SKIP_4) | instid1(VALU_DEP_1)
	v_dual_cndmask_b32 v10, v10, v11, s9 :: v_dual_bitop2_b32 v11, 32, v2 bitop3:0x54
	v_cmp_gt_u32_e64 s9, s30, v9
	ds_bpermute_b32 v11, v11, v10
	s_wait_dscnt 0x0
	v_add_f32_e32 v11, v10, v11
	v_cndmask_b32_e64 v9, v10, v11, s9
	s_delay_alu instid0(VALU_DEP_1)
	v_cndmask_b32_e32 v8, v8, v9, vcc_lo
.LBB6_48:
	s_or_b32 exec_lo, exec_lo, s29
	v_cmp_eq_u32_e64 s9, 0, v0
	s_and_saveexec_b32 s29, s9
	s_cbranch_execz .LBB6_50
; %bb.49:
	s_cvt_f32_i32 s23, s23
	s_delay_alu instid0(SALU_CYCLE_3) | instskip(SKIP_1) | instid1(VALU_DEP_2)
	v_div_scale_f32 v9, null, s23, s23, v8
	v_div_scale_f32 v12, vcc_lo, v8, s23, v8
	v_rcp_f32_e32 v10, v9
	v_nop
	s_delay_alu instid0(TRANS32_DEP_1) | instskip(NEXT) | instid1(VALU_DEP_1)
	v_fma_f32 v11, -v9, v10, 1.0
	v_fmac_f32_e32 v10, v11, v10
	s_delay_alu instid0(VALU_DEP_1) | instskip(NEXT) | instid1(VALU_DEP_1)
	v_mul_f32_e32 v11, v12, v10
	v_fma_f32 v13, -v9, v11, v12
	s_delay_alu instid0(VALU_DEP_1) | instskip(NEXT) | instid1(VALU_DEP_1)
	v_fmac_f32_e32 v11, v13, v10
	v_fma_f32 v9, -v9, v11, v12
	s_delay_alu instid0(VALU_DEP_1) | instskip(NEXT) | instid1(VALU_DEP_1)
	v_div_fmas_f32 v9, v9, v10, v11
	v_div_fixup_f32 v8, v9, s23, v8
	s_delay_alu instid0(VALU_DEP_1) | instskip(NEXT) | instid1(VALU_DEP_1)
	v_add_f32_e32 v8, s22, v8
	v_mul_f32_e32 v9, 0x4b800000, v8
	v_cmp_gt_f32_e32 vcc_lo, 0x800000, v8
	s_delay_alu instid0(VALU_DEP_2) | instskip(NEXT) | instid1(VALU_DEP_1)
	v_cndmask_b32_e32 v8, v8, v9, vcc_lo
	v_rsq_f32_e32 v8, v8
	v_nop
	s_delay_alu instid0(TRANS32_DEP_1) | instskip(NEXT) | instid1(VALU_DEP_1)
	v_mul_f32_e32 v9, 0x45800000, v8
	v_dual_cndmask_b32 v8, v8, v9 :: v_dual_mov_b32 v9, 0
	ds_store_b32 v9, v8 offset:256
.LBB6_50:
	s_or_b32 exec_lo, exec_lo, s29
	v_mov_b32_e32 v8, 0
	s_wait_dscnt 0x0
	s_barrier_signal -1
	s_barrier_wait -1
	ds_load_b32 v12, v8 offset:256
	s_and_saveexec_b32 s22, s0
	s_cbranch_execz .LBB6_60
; %bb.51:
	v_dual_mov_b32 v8, 0 :: v_dual_mov_b32 v9, v0
	s_lshl_b32 s23, s28, 1
	s_mul_i32 s30, s28, 3
	s_mov_b32 s29, 0
	s_add_co_i32 s31, s28, s28
                                        ; implicit-def: $sgpr34
	s_branch .LBB6_55
.LBB6_52:                               ;   in Loop: Header=BB6_55 Depth=1
	s_or_b32 exec_lo, exec_lo, s37
	s_delay_alu instid0(SALU_CYCLE_1)
	s_or_not1_b32 s37, s38, exec_lo
.LBB6_53:                               ;   in Loop: Header=BB6_55 Depth=1
	s_or_b32 exec_lo, exec_lo, s36
	s_delay_alu instid0(SALU_CYCLE_1) | instskip(SKIP_1) | instid1(SALU_CYCLE_1)
	s_and_not1_b32 s34, s34, exec_lo
	s_and_b32 s36, s37, exec_lo
	s_or_b32 s34, s34, s36
.LBB6_54:                               ;   in Loop: Header=BB6_55 Depth=1
	s_or_b32 exec_lo, exec_lo, s35
	s_delay_alu instid0(SALU_CYCLE_1) | instskip(NEXT) | instid1(SALU_CYCLE_1)
	s_and_b32 s35, exec_lo, s34
	s_or_b32 s29, s35, s29
	s_delay_alu instid0(SALU_CYCLE_1)
	s_and_not1_b32 exec_lo, exec_lo, s29
	s_cbranch_execz .LBB6_59
.LBB6_55:                               ; =>This Inner Loop Header: Depth=1
	s_clause 0x2
	global_load_b64 v[10:11], v9, s[10:11] scale_offset
	global_load_b64 v[14:15], v9, s[16:17] scale_offset
	;; [unrolled: 1-line block ×3, first 2 shown]
	s_or_b32 s34, s34, exec_lo
	s_mov_b32 s35, exec_lo
	s_wait_loadcnt 0x2
	v_dual_lshrrev_b32 v13, 16, v10 :: v_dual_lshrrev_b32 v18, 16, v11
	s_wait_loadcnt 0x1
	v_dual_lshrrev_b32 v19, 16, v14 :: v_dual_lshrrev_b32 v20, 16, v15
	v_cvt_f32_f16_e32 v10, v10
	v_cvt_f32_f16_e32 v14, v14
	;; [unrolled: 1-line block ×3, first 2 shown]
	s_delay_alu instid0(VALU_DEP_4) | instskip(SKIP_3) | instid1(VALU_DEP_4)
	v_cvt_f32_f16_e32 v19, v19
	v_cvt_f32_f16_e32 v11, v11
	;; [unrolled: 1-line block ×4, first 2 shown]
	v_dual_add_f32 v10, v10, v14 :: v_dual_add_f32 v13, v13, v19
	v_cvt_f32_f16_e32 v14, v20
	s_wait_loadcnt 0x0
	v_dual_lshrrev_b32 v19, 16, v16 :: v_dual_add_f32 v11, v11, v15
	s_wait_dscnt 0x0
	v_fma_mixlo_f16 v10, v12, v10, 0
	v_fma_mixlo_f16 v13, v12, v13, 0
	v_dual_add_f32 v14, v18, v14 :: v_dual_lshrrev_b32 v15, 16, v17
	v_fma_mixlo_f16 v11, v12, v11, 0
	s_delay_alu instid0(VALU_DEP_4) | instskip(NEXT) | instid1(VALU_DEP_4)
	v_mul_f16_e32 v10, v16, v10
	v_mul_f16_e32 v13, v19, v13
	s_delay_alu instid0(VALU_DEP_4) | instskip(NEXT) | instid1(VALU_DEP_4)
	v_fma_mixlo_f16 v14, v12, v14, 0
	v_mul_f16_e32 v11, v17, v11
	s_delay_alu instid0(VALU_DEP_4) | instskip(NEXT) | instid1(VALU_DEP_4)
	v_cvt_f32_f16_e64 v10, |v10|
	v_cvt_f32_f16_e64 v13, |v13|
	s_delay_alu instid0(VALU_DEP_4) | instskip(NEXT) | instid1(VALU_DEP_4)
	v_mul_f16_e32 v14, v15, v14
	v_cvt_f32_f16_e64 v11, |v11|
	s_delay_alu instid0(VALU_DEP_3) | instskip(NEXT) | instid1(VALU_DEP_3)
	v_max3_num_f32 v8, v8, v10, v13
	v_cvt_f32_f16_e64 v14, |v14|
	v_add_nc_u32_e32 v10, s28, v9
	s_delay_alu instid0(VALU_DEP_2) | instskip(NEXT) | instid1(VALU_DEP_2)
	v_max3_num_f32 v8, v8, v11, v14
	v_cmpx_gt_u32_e64 s33, v10
	s_cbranch_execz .LBB6_54
; %bb.56:                               ;   in Loop: Header=BB6_55 Depth=1
	s_clause 0x2
	global_load_b64 v[14:15], v10, s[10:11] scale_offset
	global_load_b64 v[16:17], v10, s[16:17] scale_offset
	;; [unrolled: 1-line block ×3, first 2 shown]
	s_mov_b32 s37, -1
	s_mov_b32 s36, exec_lo
	s_wait_loadcnt 0x2
	v_dual_lshrrev_b32 v11, 16, v14 :: v_dual_lshrrev_b32 v13, 16, v15
	s_wait_loadcnt 0x1
	v_dual_lshrrev_b32 v20, 16, v16 :: v_dual_lshrrev_b32 v21, 16, v17
	v_cvt_f32_f16_e32 v14, v14
	v_cvt_f32_f16_e32 v16, v16
	;; [unrolled: 1-line block ×3, first 2 shown]
	s_delay_alu instid0(VALU_DEP_4)
	v_cvt_f32_f16_e32 v20, v20
	v_cvt_f32_f16_e32 v15, v15
	;; [unrolled: 1-line block ×4, first 2 shown]
	v_add_f32_e32 v14, v14, v16
	v_cvt_f32_f16_e32 v16, v21
	s_wait_loadcnt 0x0
	v_dual_add_f32 v11, v11, v20 :: v_dual_lshrrev_b32 v20, 16, v18
	v_add_f32_e32 v15, v15, v17
	v_fma_mixlo_f16 v14, v12, v14, 0
	v_dual_add_f32 v13, v13, v16 :: v_dual_lshrrev_b32 v16, 16, v19
	s_delay_alu instid0(VALU_DEP_4) | instskip(NEXT) | instid1(VALU_DEP_4)
	v_fma_mixlo_f16 v11, v12, v11, 0
	v_fma_mixlo_f16 v15, v12, v15, 0
	s_delay_alu instid0(VALU_DEP_4) | instskip(NEXT) | instid1(VALU_DEP_4)
	v_mul_f16_e32 v14, v18, v14
	v_fma_mixlo_f16 v13, v12, v13, 0
	s_delay_alu instid0(VALU_DEP_4) | instskip(NEXT) | instid1(VALU_DEP_4)
	v_mul_f16_e32 v11, v20, v11
	v_mul_f16_e32 v15, v19, v15
	s_delay_alu instid0(VALU_DEP_4) | instskip(NEXT) | instid1(VALU_DEP_4)
	v_cvt_f32_f16_e64 v14, |v14|
	v_mul_f16_e32 v13, v16, v13
	s_delay_alu instid0(VALU_DEP_4) | instskip(NEXT) | instid1(VALU_DEP_4)
	v_cvt_f32_f16_e64 v11, |v11|
	v_cvt_f32_f16_e64 v15, |v15|
	s_delay_alu instid0(VALU_DEP_3) | instskip(NEXT) | instid1(VALU_DEP_3)
	v_cvt_f32_f16_e64 v13, |v13|
	v_max3_num_f32 v8, v8, v14, v11
	v_add_nc_u32_e32 v11, s23, v9
	s_delay_alu instid0(VALU_DEP_2) | instskip(NEXT) | instid1(VALU_DEP_2)
	v_max3_num_f32 v8, v8, v15, v13
	v_cmpx_gt_u32_e64 s33, v11
	s_cbranch_execz .LBB6_53
; %bb.57:                               ;   in Loop: Header=BB6_55 Depth=1
	s_clause 0x2
	global_load_b64 v[14:15], v11, s[10:11] scale_offset
	global_load_b64 v[16:17], v11, s[16:17] scale_offset
	;; [unrolled: 1-line block ×3, first 2 shown]
	s_mov_b32 s38, -1
	s_mov_b32 s37, exec_lo
	s_wait_loadcnt 0x2
	s_wait_xcnt 0x0
	v_dual_lshrrev_b32 v11, 16, v14 :: v_dual_lshrrev_b32 v13, 16, v15
	s_wait_loadcnt 0x1
	v_dual_lshrrev_b32 v20, 16, v16 :: v_dual_lshrrev_b32 v21, 16, v17
	v_cvt_f32_f16_e32 v14, v14
	v_cvt_f32_f16_e32 v16, v16
	;; [unrolled: 1-line block ×3, first 2 shown]
	s_delay_alu instid0(VALU_DEP_4)
	v_cvt_f32_f16_e32 v20, v20
	v_cvt_f32_f16_e32 v15, v15
	;; [unrolled: 1-line block ×4, first 2 shown]
	v_add_f32_e32 v14, v14, v16
	v_cvt_f32_f16_e32 v16, v21
	s_wait_loadcnt 0x0
	v_dual_add_f32 v11, v11, v20 :: v_dual_lshrrev_b32 v20, 16, v18
	v_add_f32_e32 v15, v15, v17
	v_fma_mixlo_f16 v14, v12, v14, 0
	v_dual_add_f32 v13, v13, v16 :: v_dual_lshrrev_b32 v16, 16, v19
	s_delay_alu instid0(VALU_DEP_4) | instskip(NEXT) | instid1(VALU_DEP_4)
	v_fma_mixlo_f16 v11, v12, v11, 0
	v_fma_mixlo_f16 v15, v12, v15, 0
	s_delay_alu instid0(VALU_DEP_4) | instskip(NEXT) | instid1(VALU_DEP_4)
	v_mul_f16_e32 v14, v18, v14
	v_fma_mixlo_f16 v13, v12, v13, 0
	s_delay_alu instid0(VALU_DEP_4) | instskip(NEXT) | instid1(VALU_DEP_4)
	v_mul_f16_e32 v11, v20, v11
	v_mul_f16_e32 v15, v19, v15
	s_delay_alu instid0(VALU_DEP_4) | instskip(NEXT) | instid1(VALU_DEP_4)
	v_cvt_f32_f16_e64 v14, |v14|
	v_mul_f16_e32 v13, v16, v13
	s_delay_alu instid0(VALU_DEP_4) | instskip(NEXT) | instid1(VALU_DEP_4)
	v_cvt_f32_f16_e64 v11, |v11|
	v_cvt_f32_f16_e64 v15, |v15|
	s_delay_alu instid0(VALU_DEP_3) | instskip(NEXT) | instid1(VALU_DEP_3)
	v_cvt_f32_f16_e64 v13, |v13|
	v_max3_num_f32 v8, v8, v14, v11
	v_add_nc_u32_e32 v11, s30, v9
                                        ; implicit-def: $vgpr9
	s_delay_alu instid0(VALU_DEP_2) | instskip(NEXT) | instid1(VALU_DEP_2)
	v_max3_num_f32 v8, v8, v15, v13
	v_cmpx_gt_u32_e64 s33, v11
	s_xor_b32 s37, exec_lo, s37
	s_cbranch_execz .LBB6_52
; %bb.58:                               ;   in Loop: Header=BB6_55 Depth=1
	s_clause 0x2
	global_load_b64 v[14:15], v11, s[10:11] scale_offset
	global_load_b64 v[16:17], v11, s[16:17] scale_offset
	;; [unrolled: 1-line block ×3, first 2 shown]
	s_wait_loadcnt 0x2
	s_wait_xcnt 0x0
	v_dual_lshrrev_b32 v9, 16, v14 :: v_dual_lshrrev_b32 v11, 16, v15
	s_wait_loadcnt 0x1
	v_dual_lshrrev_b32 v13, 16, v16 :: v_dual_lshrrev_b32 v20, 16, v17
	v_cvt_f32_f16_e32 v14, v14
	v_cvt_f32_f16_e32 v16, v16
	;; [unrolled: 1-line block ×3, first 2 shown]
	s_delay_alu instid0(VALU_DEP_4) | instskip(SKIP_3) | instid1(VALU_DEP_4)
	v_cvt_f32_f16_e32 v13, v13
	v_cvt_f32_f16_e32 v15, v15
	;; [unrolled: 1-line block ×4, first 2 shown]
	v_dual_add_f32 v14, v14, v16 :: v_dual_add_f32 v9, v9, v13
	v_cvt_f32_f16_e32 v13, v20
	s_wait_loadcnt 0x0
	v_dual_add_f32 v15, v15, v17 :: v_dual_lshrrev_b32 v16, 16, v18
	s_delay_alu instid0(VALU_DEP_3) | instskip(SKIP_2) | instid1(VALU_DEP_4)
	v_fma_mixlo_f16 v14, v12, v14, 0
	v_fma_mixlo_f16 v9, v12, v9, 0
	v_dual_add_f32 v11, v11, v13 :: v_dual_lshrrev_b32 v13, 16, v19
	v_fma_mixlo_f16 v15, v12, v15, 0
	s_delay_alu instid0(VALU_DEP_4) | instskip(NEXT) | instid1(VALU_DEP_4)
	v_mul_f16_e32 v14, v18, v14
	v_mul_f16_e32 v9, v16, v9
	s_delay_alu instid0(VALU_DEP_4) | instskip(NEXT) | instid1(VALU_DEP_4)
	v_fma_mixlo_f16 v11, v12, v11, 0
	v_mul_f16_e32 v15, v19, v15
	s_delay_alu instid0(VALU_DEP_4) | instskip(NEXT) | instid1(VALU_DEP_4)
	v_cvt_f32_f16_e64 v14, |v14|
	v_cvt_f32_f16_e64 v16, |v9|
	s_delay_alu instid0(VALU_DEP_4) | instskip(SKIP_2) | instid1(VALU_DEP_4)
	v_mul_f16_e32 v11, v13, v11
	v_add3_u32 v9, s31, s28, v10
	v_cvt_f32_f16_e64 v10, |v15|
	v_max3_num_f32 v8, v8, v14, v16
	s_delay_alu instid0(VALU_DEP_4) | instskip(NEXT) | instid1(VALU_DEP_4)
	v_cvt_f32_f16_e64 v11, |v11|
	v_cmp_le_u32_e32 vcc_lo, s33, v9
	s_delay_alu instid0(VALU_DEP_2)
	v_max3_num_f32 v8, v8, v10, v11
	s_or_not1_b32 s38, vcc_lo, exec_lo
	s_branch .LBB6_52
.LBB6_59:
	s_or_b32 exec_lo, exec_lo, s29
.LBB6_60:
	s_delay_alu instid0(SALU_CYCLE_1)
	s_or_b32 exec_lo, exec_lo, s22
	ds_bpermute_b32 v3, v3, v8
	v_or_b32_e32 v9, 0x80, v2
	s_wait_dscnt 0x0
	v_cmp_lt_f32_e32 vcc_lo, v8, v3
	v_cndmask_b32_e32 v3, v8, v3, vcc_lo
	s_delay_alu instid0(VALU_DEP_1) | instskip(SKIP_1) | instid1(SALU_CYCLE_1)
	v_cndmask_b32_e64 v3, v8, v3, s1
	s_or_b32 s1, s1, s2
	s_or_b32 s1, s3, s1
	s_delay_alu instid0(SALU_CYCLE_1)
	s_or_b32 s1, s4, s1
	ds_bpermute_b32 v4, v4, v3
	s_or_b32 s1, s5, s1
	s_wait_dscnt 0x0
	v_cmp_lt_f32_e32 vcc_lo, v3, v4
	v_cndmask_b32_e32 v4, v3, v4, vcc_lo
	s_delay_alu instid0(VALU_DEP_1) | instskip(SKIP_4) | instid1(VALU_DEP_1)
	v_cndmask_b32_e64 v3, v3, v4, s2
	ds_bpermute_b32 v4, v5, v3
	s_wait_dscnt 0x0
	v_cmp_lt_f32_e32 vcc_lo, v3, v4
	v_cndmask_b32_e32 v4, v3, v4, vcc_lo
	v_cndmask_b32_e64 v3, v3, v4, s3
	ds_bpermute_b32 v4, v6, v3
	s_wait_dscnt 0x0
	v_cmp_lt_f32_e32 vcc_lo, v3, v4
	v_cndmask_b32_e32 v4, v3, v4, vcc_lo
	s_delay_alu instid0(VALU_DEP_1) | instskip(SKIP_4) | instid1(VALU_DEP_1)
	v_cndmask_b32_e64 v3, v3, v4, s4
	ds_bpermute_b32 v4, v7, v3
	s_wait_dscnt 0x0
	v_cmp_lt_f32_e32 vcc_lo, v3, v4
	v_cndmask_b32_e32 v4, v3, v4, vcc_lo
	v_cndmask_b32_e64 v3, v3, v4, s5
	ds_bpermute_b32 v4, v9, v3
	s_wait_dscnt 0x0
	v_cmp_lt_f32_e32 vcc_lo, v3, v4
	s_and_b32 vcc_lo, s8, vcc_lo
	v_cndmask_b32_e32 v3, v3, v4, vcc_lo
	s_or_b32 vcc_lo, s8, s1
	s_delay_alu instid0(VALU_DEP_1)
	v_cndmask_b32_e32 v3, v8, v3, vcc_lo
	s_and_saveexec_b32 s1, s6
; %bb.61:
	v_lshrrev_b32_e32 v4, 4, v0
	s_delay_alu instid0(VALU_DEP_1)
	v_and_b32_e32 v4, 60, v4
	ds_store_b32 v4, v3 offset:64
; %bb.62:
	s_or_b32 exec_lo, exec_lo, s1
	s_wait_dscnt 0x0
	s_barrier_signal -1
	s_barrier_wait -1
	s_and_saveexec_b32 s3, s7
	s_cbranch_execz .LBB6_64
; %bb.63:
	ds_load_b32 v3, v2 offset:64
	v_and_b32_e32 v4, 15, v1
	s_add_co_i32 s1, s28, 63
	v_or_b32_e32 v2, 32, v2
	s_lshr_b32 s2, s1, 6
	s_delay_alu instid0(VALU_DEP_2) | instskip(SKIP_4) | instid1(VALU_DEP_3)
	v_cmp_ne_u32_e32 vcc_lo, 15, v4
	v_add_nc_u32_e32 v6, 1, v4
	v_cmp_gt_u32_e64 s1, 12, v4
	v_add_co_ci_u32_e64 v5, null, 0, v1, vcc_lo
	v_cmp_gt_u32_e32 vcc_lo, 14, v4
	v_cndmask_b32_e64 v8, 0, 4, s1
	s_delay_alu instid0(VALU_DEP_3)
	v_lshlrev_b32_e32 v5, 2, v5
	v_cndmask_b32_e64 v7, 0, 2, vcc_lo
	s_wait_dscnt 0x0
	ds_bpermute_b32 v5, v5, v3
	v_add_lshl_u32 v7, v7, v1, 2
	v_add_lshl_u32 v1, v8, v1, 2
	s_wait_dscnt 0x0
	v_cmp_lt_f32_e32 vcc_lo, v3, v5
	v_cndmask_b32_e32 v5, v3, v5, vcc_lo
	v_cmp_gt_u32_e32 vcc_lo, s2, v6
	s_delay_alu instid0(VALU_DEP_2) | instskip(SKIP_3) | instid1(VALU_DEP_1)
	v_cndmask_b32_e32 v5, v3, v5, vcc_lo
	ds_bpermute_b32 v6, v7, v5
	s_wait_dscnt 0x0
	v_cmp_lt_f32_e64 s1, v5, v6
	v_dual_cndmask_b32 v6, v5, v6, s1 :: v_dual_add_nc_u32 v7, 2, v4
	s_delay_alu instid0(VALU_DEP_1) | instskip(NEXT) | instid1(VALU_DEP_1)
	v_cmp_gt_u32_e64 s1, s2, v7
	v_dual_cndmask_b32 v5, v5, v6, s1 :: v_dual_add_nc_u32 v6, 4, v4
	v_add_nc_u32_e32 v4, 8, v4
	ds_bpermute_b32 v1, v1, v5
	s_wait_dscnt 0x0
	v_cmp_lt_f32_e64 s1, v5, v1
	s_delay_alu instid0(VALU_DEP_1) | instskip(SKIP_1) | instid1(VALU_DEP_1)
	v_cndmask_b32_e64 v1, v5, v1, s1
	v_cmp_gt_u32_e64 s1, s2, v6
	v_cndmask_b32_e64 v1, v5, v1, s1
	v_cmp_gt_u32_e64 s1, s2, v4
	ds_bpermute_b32 v2, v2, v1
	s_wait_dscnt 0x0
	v_cmp_lt_f32_e64 s2, v1, v2
	s_and_b32 s1, s1, s2
	s_delay_alu instid0(SALU_CYCLE_1) | instskip(NEXT) | instid1(VALU_DEP_1)
	v_cndmask_b32_e64 v1, v1, v2, s1
	v_cndmask_b32_e32 v3, v3, v1, vcc_lo
.LBB6_64:
	s_or_b32 exec_lo, exec_lo, s3
	s_and_saveexec_b32 s1, s9
	s_cbranch_execz .LBB6_68
; %bb.65:
	s_cmp_eq_u64 s[20:21], 0
	s_cbranch_scc1 .LBB6_67
; %bb.66:
	v_dual_mov_b32 v1, 0 :: v_dual_max_num_f32 v2, v3, v3
	global_load_b32 v1, v1, s[20:21]
	s_wait_loadcnt 0x0
	v_max_num_f32_e32 v1, v1, v1
	s_delay_alu instid0(VALU_DEP_1)
	v_min_num_f32_e32 v3, v2, v1
.LBB6_67:
	s_delay_alu instid0(VALU_DEP_1)
	v_div_scale_f32 v1, null, 0x43e00000, 0x43e00000, v3
	v_div_scale_f32 v5, vcc_lo, v3, 0x43e00000, v3
	s_lshl_b64 s[2:3], s[26:27], 2
	v_rcp_f32_e32 v2, v1
	s_add_nc_u64 s[2:3], s[14:15], s[2:3]
	v_nop
	s_delay_alu instid0(TRANS32_DEP_1) | instskip(NEXT) | instid1(VALU_DEP_1)
	v_fma_f32 v4, -v1, v2, 1.0
	v_fmac_f32_e32 v2, v4, v2
	s_delay_alu instid0(VALU_DEP_1) | instskip(NEXT) | instid1(VALU_DEP_1)
	v_mul_f32_e32 v4, v5, v2
	v_fma_f32 v6, -v1, v4, v5
	s_delay_alu instid0(VALU_DEP_1) | instskip(NEXT) | instid1(VALU_DEP_1)
	v_fmac_f32_e32 v4, v6, v2
	v_fma_f32 v1, -v1, v4, v5
	s_delay_alu instid0(VALU_DEP_1) | instskip(SKIP_1) | instid1(VALU_DEP_2)
	v_div_fmas_f32 v1, v1, v2, v4
	v_mov_b32_e32 v2, 0
	v_div_fixup_f32 v1, v1, 0x43e00000, v3
	s_delay_alu instid0(VALU_DEP_1)
	v_max_num_f32_e32 v1, 0x36924925, v1
	ds_store_b32 v2, v1 offset:260
	global_store_b32 v2, v1, s[2:3]
.LBB6_68:
	s_wait_xcnt 0x0
	s_or_b32 exec_lo, exec_lo, s1
	s_wait_storecnt_dscnt 0x0
	s_barrier_signal -1
	s_barrier_wait -1
	s_and_saveexec_b32 s1, s0
	s_cbranch_execz .LBB6_173
; %bb.69:
	v_mov_b32_e32 v1, 0
	s_add_nc_u64 s[0:1], s[12:13], s[24:25]
	s_lshl_b32 s2, s28, 1
	s_mul_i32 s3, s28, 3
	s_mov_b32 s4, 0
	ds_load_b32 v13, v1 offset:260
	s_mov_b32 s5, 0x43e00000
	s_add_co_i32 s6, s28, s28
	s_branch .LBB6_75
.LBB6_70:                               ;   in Loop: Header=BB6_75 Depth=1
	s_or_b32 exec_lo, exec_lo, s13
.LBB6_71:                               ;   in Loop: Header=BB6_75 Depth=1
	s_delay_alu instid0(SALU_CYCLE_1) | instskip(SKIP_3) | instid1(VALU_DEP_3)
	s_or_b32 exec_lo, exec_lo, s12
	v_dual_lshrrev_b32 v7, 24, v9 :: v_dual_lshrrev_b32 v4, 24, v4
	v_dual_lshrrev_b32 v3, 24, v3 :: v_dual_lshlrev_b32 v6, 24, v6
	v_and_b32_e32 v9, 0x80000000, v5
	v_and_b32_e32 v7, 0x80, v7
	s_delay_alu instid0(VALU_DEP_4) | instskip(SKIP_1) | instid1(VALU_DEP_3)
	v_and_b32_e32 v4, 0x80, v4
	v_and_b32_e32 v8, 0xff, v8
	v_and_or_b32 v7, 0xff, v11, v7
	s_delay_alu instid0(VALU_DEP_3) | instskip(SKIP_3) | instid1(VALU_DEP_4)
	v_and_or_b32 v10, 0xff, v10, v4
	v_lshl_add_u64 v[4:5], v[0:1], 2, s[0:1]
	v_add3_u32 v0, s6, s28, v2
	v_and_or_b32 v3, 0x80, v3, v8
	v_dual_lshlrev_b32 v7, 16, v7 :: v_dual_lshlrev_b32 v2, 8, v10
	s_delay_alu instid0(VALU_DEP_3) | instskip(NEXT) | instid1(VALU_DEP_2)
	v_cmp_le_u32_e32 vcc_lo, s33, v0
	v_or3_b32 v6, v9, v6, v7
	s_or_not1_b32 s12, vcc_lo, exec_lo
	s_delay_alu instid0(VALU_DEP_1)
	v_or3_b32 v2, v6, v2, v3
	global_store_b32 v[4:5], v2, off
.LBB6_72:                               ;   in Loop: Header=BB6_75 Depth=1
	s_wait_xcnt 0x0
	s_or_b32 exec_lo, exec_lo, s9
	s_delay_alu instid0(SALU_CYCLE_1)
	s_or_not1_b32 s9, s12, exec_lo
.LBB6_73:                               ;   in Loop: Header=BB6_75 Depth=1
	s_or_b32 exec_lo, exec_lo, s8
	s_delay_alu instid0(SALU_CYCLE_1)
	s_or_not1_b32 s8, s9, exec_lo
.LBB6_74:                               ;   in Loop: Header=BB6_75 Depth=1
	s_or_b32 exec_lo, exec_lo, s7
	s_delay_alu instid0(SALU_CYCLE_1) | instskip(NEXT) | instid1(SALU_CYCLE_1)
	s_and_b32 s7, exec_lo, s8
	s_or_b32 s4, s7, s4
	s_delay_alu instid0(SALU_CYCLE_1)
	s_and_not1_b32 exec_lo, exec_lo, s4
	s_cbranch_execz .LBB6_173
.LBB6_75:                               ; =>This Inner Loop Header: Depth=1
	s_clause 0x2
	global_load_b64 v[4:5], v0, s[10:11] scale_offset
	global_load_b64 v[8:9], v0, s[16:17] scale_offset
	;; [unrolled: 1-line block ×3, first 2 shown]
	s_mov_b32 s7, exec_lo
	s_wait_loadcnt 0x2
	v_lshrrev_b32_e32 v7, 16, v4
	s_wait_loadcnt 0x1
	v_lshrrev_b32_e32 v11, 16, v8
	v_cvt_f32_f16_e32 v6, v4
	v_cvt_f32_f16_e32 v10, v8
	;; [unrolled: 1-line block ×3, first 2 shown]
	s_delay_alu instid0(VALU_DEP_4) | instskip(NEXT) | instid1(VALU_DEP_1)
	v_cvt_f32_f16_e32 v11, v11
	v_pk_add_f32 v[6:7], v[6:7], v[10:11]
	s_delay_alu instid0(VALU_DEP_1) | instskip(SKIP_1) | instid1(VALU_DEP_1)
	v_fma_mixlo_f16 v4, v12, v6, 0
	s_wait_loadcnt 0x0
	v_mul_f16_e32 v4, v2, v4
	s_delay_alu instid0(VALU_DEP_1) | instskip(SKIP_1) | instid1(VALU_DEP_1)
	v_cvt_f32_f16_e32 v8, v4
	s_wait_dscnt 0x0
	v_div_scale_f32 v4, null, v13, v13, v8
	v_div_scale_f32 v14, vcc_lo, v8, v13, v8
	s_delay_alu instid0(VALU_DEP_2) | instskip(SKIP_1) | instid1(TRANS32_DEP_1)
	v_rcp_f32_e32 v10, v4
	v_nop
	v_fma_f32 v11, -v4, v10, 1.0
	s_delay_alu instid0(VALU_DEP_1) | instskip(NEXT) | instid1(VALU_DEP_1)
	v_fmac_f32_e32 v10, v11, v10
	v_mul_f32_e32 v11, v14, v10
	s_delay_alu instid0(VALU_DEP_1) | instskip(NEXT) | instid1(VALU_DEP_1)
	v_fma_f32 v15, -v4, v11, v14
	v_fmac_f32_e32 v11, v15, v10
	s_delay_alu instid0(VALU_DEP_1) | instskip(NEXT) | instid1(VALU_DEP_1)
	v_dual_fma_f32 v4, -v4, v11, v14 :: v_dual_lshrrev_b32 v14, 16, v9
	v_div_fmas_f32 v10, v4, v10, v11
	v_lshrrev_b32_e32 v11, 16, v5
	v_cvt_f32_f16_e32 v4, v5
	s_delay_alu instid0(VALU_DEP_3) | instskip(SKIP_1) | instid1(VALU_DEP_4)
	v_div_fixup_f32 v8, v10, v13, v8
	v_cvt_f32_f16_e32 v10, v9
	v_cvt_f32_f16_e32 v5, v11
	;; [unrolled: 1-line block ×3, first 2 shown]
	v_mov_b32_e32 v9, 0x7f
	v_minmax_num_f32 v8, v8, s5, 0xc3e00000
	v_cvt_pk_f16_f32 v14, v6, v7
	v_mov_b32_e32 v6, 0x7f
	v_pk_add_f32 v[4:5], v[4:5], v[10:11]
	s_delay_alu instid0(VALU_DEP_4) | instskip(NEXT) | instid1(VALU_DEP_2)
	v_and_b32_e32 v10, 0x7fffffff, v8
	v_cvt_pk_f16_f32 v15, v4, v5
	global_store_b64 v0, v[14:15], s[16:17] scale_offset
	s_wait_xcnt 0x0
	v_cmpx_gt_u32_e32 0x43f00000, v10
	s_cbranch_execz .LBB6_81
; %bb.76:                               ;   in Loop: Header=BB6_75 Depth=1
	s_mov_b32 s8, exec_lo
                                        ; implicit-def: $vgpr6
	v_cmpx_lt_u32_e32 0x3c7fffff, v10
	s_xor_b32 s8, exec_lo, s8
; %bb.77:                               ;   in Loop: Header=BB6_75 Depth=1
	v_bfe_u32 v6, v8, 20, 1
	s_delay_alu instid0(VALU_DEP_1) | instskip(NEXT) | instid1(VALU_DEP_1)
	v_add3_u32 v6, v8, v6, 0x407ffff
	v_lshrrev_b32_e32 v6, 20, v6
; %bb.78:                               ;   in Loop: Header=BB6_75 Depth=1
	s_and_not1_saveexec_b32 s8, s8
; %bb.79:                               ;   in Loop: Header=BB6_75 Depth=1
	v_add_f32_e64 v6, 0x46800000, |v8|
; %bb.80:                               ;   in Loop: Header=BB6_75 Depth=1
	s_or_b32 exec_lo, exec_lo, s8
.LBB6_81:                               ;   in Loop: Header=BB6_75 Depth=1
	s_delay_alu instid0(SALU_CYCLE_1) | instskip(SKIP_3) | instid1(VALU_DEP_1)
	s_or_b32 exec_lo, exec_lo, s7
	v_lshrrev_b32_e32 v2, 16, v2
	v_fma_mixlo_f16 v7, v12, v7, 0
	s_mov_b32 s7, exec_lo
	v_mul_f16_e32 v2, v2, v7
	s_delay_alu instid0(VALU_DEP_1) | instskip(NEXT) | instid1(VALU_DEP_1)
	v_cvt_f32_f16_e32 v2, v2
	v_div_scale_f32 v7, null, v13, v13, v2
	s_delay_alu instid0(VALU_DEP_1) | instskip(SKIP_1) | instid1(TRANS32_DEP_1)
	v_rcp_f32_e32 v10, v7
	v_nop
	v_fma_f32 v11, -v7, v10, 1.0
	s_delay_alu instid0(VALU_DEP_1) | instskip(SKIP_1) | instid1(VALU_DEP_1)
	v_fmac_f32_e32 v10, v11, v10
	v_div_scale_f32 v11, vcc_lo, v2, v13, v2
	v_mul_f32_e32 v14, v11, v10
	s_delay_alu instid0(VALU_DEP_1) | instskip(NEXT) | instid1(VALU_DEP_1)
	v_fma_f32 v15, -v7, v14, v11
	v_fmac_f32_e32 v14, v15, v10
	s_delay_alu instid0(VALU_DEP_1) | instskip(NEXT) | instid1(VALU_DEP_1)
	v_fma_f32 v7, -v7, v14, v11
	v_div_fmas_f32 v7, v7, v10, v14
	s_delay_alu instid0(VALU_DEP_1) | instskip(NEXT) | instid1(VALU_DEP_1)
	v_div_fixup_f32 v2, v7, v13, v2
	v_minmax_num_f32 v2, v2, s5, 0xc3e00000
	s_delay_alu instid0(VALU_DEP_1) | instskip(NEXT) | instid1(VALU_DEP_1)
	v_and_b32_e32 v7, 0x7fffffff, v2
	v_cmpx_gt_u32_e32 0x43f00000, v7
	s_cbranch_execz .LBB6_87
; %bb.82:                               ;   in Loop: Header=BB6_75 Depth=1
	s_mov_b32 s8, exec_lo
                                        ; implicit-def: $vgpr9
	v_cmpx_lt_u32_e32 0x3c7fffff, v7
	s_xor_b32 s8, exec_lo, s8
; %bb.83:                               ;   in Loop: Header=BB6_75 Depth=1
	v_bfe_u32 v7, v2, 20, 1
	s_delay_alu instid0(VALU_DEP_1) | instskip(NEXT) | instid1(VALU_DEP_1)
	v_add3_u32 v7, v2, v7, 0x407ffff
	v_lshrrev_b32_e32 v9, 20, v7
; %bb.84:                               ;   in Loop: Header=BB6_75 Depth=1
	s_and_not1_saveexec_b32 s8, s8
; %bb.85:                               ;   in Loop: Header=BB6_75 Depth=1
	v_add_f32_e64 v9, 0x46800000, |v2|
; %bb.86:                               ;   in Loop: Header=BB6_75 Depth=1
	s_or_b32 exec_lo, exec_lo, s8
.LBB6_87:                               ;   in Loop: Header=BB6_75 Depth=1
	s_delay_alu instid0(SALU_CYCLE_1) | instskip(SKIP_2) | instid1(VALU_DEP_1)
	s_or_b32 exec_lo, exec_lo, s7
	v_fma_mixlo_f16 v4, v12, v4, 0
	s_mov_b32 s7, exec_lo
	v_mul_f16_e32 v4, v3, v4
	s_delay_alu instid0(VALU_DEP_1) | instskip(NEXT) | instid1(VALU_DEP_1)
	v_cvt_f32_f16_e32 v4, v4
	v_div_scale_f32 v7, null, v13, v13, v4
	v_div_scale_f32 v14, vcc_lo, v4, v13, v4
	s_delay_alu instid0(VALU_DEP_2) | instskip(SKIP_1) | instid1(TRANS32_DEP_1)
	v_rcp_f32_e32 v10, v7
	v_nop
	v_fma_f32 v11, -v7, v10, 1.0
	s_delay_alu instid0(VALU_DEP_1) | instskip(NEXT) | instid1(VALU_DEP_1)
	v_fmac_f32_e32 v10, v11, v10
	v_mul_f32_e32 v11, v14, v10
	s_delay_alu instid0(VALU_DEP_1) | instskip(NEXT) | instid1(VALU_DEP_1)
	v_fma_f32 v15, -v7, v11, v14
	v_fmac_f32_e32 v11, v15, v10
	s_delay_alu instid0(VALU_DEP_1) | instskip(NEXT) | instid1(VALU_DEP_1)
	v_fma_f32 v7, -v7, v11, v14
	v_div_fmas_f32 v7, v7, v10, v11
	v_mov_b32_e32 v10, 0x7f
	s_delay_alu instid0(VALU_DEP_2) | instskip(NEXT) | instid1(VALU_DEP_1)
	v_div_fixup_f32 v4, v7, v13, v4
	v_minmax_num_f32 v7, v4, s5, 0xc3e00000
	v_mov_b32_e32 v4, 0x7f
	s_delay_alu instid0(VALU_DEP_2) | instskip(NEXT) | instid1(VALU_DEP_1)
	v_and_b32_e32 v11, 0x7fffffff, v7
	v_cmpx_gt_u32_e32 0x43f00000, v11
	s_cbranch_execz .LBB6_93
; %bb.88:                               ;   in Loop: Header=BB6_75 Depth=1
	s_mov_b32 s8, exec_lo
                                        ; implicit-def: $vgpr10
	v_cmpx_lt_u32_e32 0x3c7fffff, v11
	s_xor_b32 s8, exec_lo, s8
; %bb.89:                               ;   in Loop: Header=BB6_75 Depth=1
	v_bfe_u32 v10, v7, 20, 1
	s_delay_alu instid0(VALU_DEP_1) | instskip(NEXT) | instid1(VALU_DEP_1)
	v_add3_u32 v10, v7, v10, 0x407ffff
	v_lshrrev_b32_e32 v10, 20, v10
; %bb.90:                               ;   in Loop: Header=BB6_75 Depth=1
	s_and_not1_saveexec_b32 s8, s8
; %bb.91:                               ;   in Loop: Header=BB6_75 Depth=1
	v_add_f32_e64 v10, 0x46800000, |v7|
; %bb.92:                               ;   in Loop: Header=BB6_75 Depth=1
	s_or_b32 exec_lo, exec_lo, s8
.LBB6_93:                               ;   in Loop: Header=BB6_75 Depth=1
	s_delay_alu instid0(SALU_CYCLE_1) | instskip(SKIP_3) | instid1(VALU_DEP_1)
	s_or_b32 exec_lo, exec_lo, s7
	v_lshrrev_b32_e32 v3, 16, v3
	v_fma_mixlo_f16 v5, v12, v5, 0
	s_mov_b32 s7, exec_lo
	v_mul_f16_e32 v3, v3, v5
	s_delay_alu instid0(VALU_DEP_1) | instskip(NEXT) | instid1(VALU_DEP_1)
	v_cvt_f32_f16_e32 v3, v3
	v_div_scale_f32 v5, null, v13, v13, v3
	s_delay_alu instid0(VALU_DEP_1) | instskip(SKIP_1) | instid1(TRANS32_DEP_1)
	v_rcp_f32_e32 v11, v5
	v_nop
	v_fma_f32 v14, -v5, v11, 1.0
	s_delay_alu instid0(VALU_DEP_1) | instskip(SKIP_1) | instid1(VALU_DEP_1)
	v_fmac_f32_e32 v11, v14, v11
	v_div_scale_f32 v14, vcc_lo, v3, v13, v3
	v_mul_f32_e32 v15, v14, v11
	s_delay_alu instid0(VALU_DEP_1) | instskip(NEXT) | instid1(VALU_DEP_1)
	v_fma_f32 v16, -v5, v15, v14
	v_fmac_f32_e32 v15, v16, v11
	s_delay_alu instid0(VALU_DEP_1) | instskip(NEXT) | instid1(VALU_DEP_1)
	v_fma_f32 v5, -v5, v15, v14
	v_div_fmas_f32 v5, v5, v11, v15
	s_delay_alu instid0(VALU_DEP_1) | instskip(NEXT) | instid1(VALU_DEP_1)
	v_div_fixup_f32 v3, v5, v13, v3
	v_minmax_num_f32 v3, v3, s5, 0xc3e00000
	s_delay_alu instid0(VALU_DEP_1) | instskip(NEXT) | instid1(VALU_DEP_1)
	v_and_b32_e32 v5, 0x7fffffff, v3
	v_cmpx_gt_u32_e32 0x43f00000, v5
	s_cbranch_execz .LBB6_99
; %bb.94:                               ;   in Loop: Header=BB6_75 Depth=1
	s_mov_b32 s8, exec_lo
                                        ; implicit-def: $vgpr4
	v_cmpx_lt_u32_e32 0x3c7fffff, v5
	s_xor_b32 s8, exec_lo, s8
; %bb.95:                               ;   in Loop: Header=BB6_75 Depth=1
	v_bfe_u32 v4, v3, 20, 1
	s_delay_alu instid0(VALU_DEP_1) | instskip(NEXT) | instid1(VALU_DEP_1)
	v_add3_u32 v4, v3, v4, 0x407ffff
	v_lshrrev_b32_e32 v4, 20, v4
; %bb.96:                               ;   in Loop: Header=BB6_75 Depth=1
	s_and_not1_saveexec_b32 s8, s8
; %bb.97:                               ;   in Loop: Header=BB6_75 Depth=1
	v_add_f32_e64 v4, 0x46800000, |v3|
; %bb.98:                               ;   in Loop: Header=BB6_75 Depth=1
	s_or_b32 exec_lo, exec_lo, s8
.LBB6_99:                               ;   in Loop: Header=BB6_75 Depth=1
	s_delay_alu instid0(SALU_CYCLE_1) | instskip(SKIP_4) | instid1(VALU_DEP_3)
	s_or_b32 exec_lo, exec_lo, s7
	v_dual_lshrrev_b32 v5, 24, v7 :: v_dual_lshrrev_b32 v2, 24, v2
	v_and_b32_e32 v3, 0x80000000, v3
	v_and_b32_e32 v6, 0xff, v6
	s_mov_b32 s8, -1
	v_and_b32_e32 v5, 0x80, v5
	v_and_b32_e32 v2, 0x80, v2
	s_mov_b32 s7, exec_lo
	s_delay_alu instid0(VALU_DEP_2) | instskip(SKIP_1) | instid1(VALU_DEP_3)
	v_and_or_b32 v5, 0xff, v10, v5
	v_lshrrev_b32_e32 v7, 24, v8
	v_and_or_b32 v2, 0xff, v9, v2
	s_delay_alu instid0(VALU_DEP_3) | instskip(NEXT) | instid1(VALU_DEP_3)
	v_dual_lshlrev_b32 v4, 24, v4 :: v_dual_lshlrev_b32 v5, 16, v5
	v_and_or_b32 v6, 0x80, v7, v6
	s_delay_alu instid0(VALU_DEP_3) | instskip(NEXT) | instid1(VALU_DEP_3)
	v_dual_lshlrev_b32 v8, 8, v2 :: v_dual_add_nc_u32 v2, s28, v0
	v_or3_b32 v3, v3, v4, v5
	v_lshl_add_u64 v[4:5], v[0:1], 2, s[0:1]
	s_delay_alu instid0(VALU_DEP_2)
	v_or3_b32 v3, v3, v8, v6
	global_store_b32 v[4:5], v3, off
	s_wait_xcnt 0x0
	v_cmpx_gt_u32_e64 s33, v2
	s_cbranch_execz .LBB6_74
; %bb.100:                              ;   in Loop: Header=BB6_75 Depth=1
	s_clause 0x2
	global_load_b64 v[6:7], v2, s[10:11] scale_offset
	global_load_b64 v[10:11], v2, s[16:17] scale_offset
	;; [unrolled: 1-line block ×3, first 2 shown]
	s_mov_b32 s8, exec_lo
	s_wait_loadcnt 0x2
	v_lshrrev_b32_e32 v3, 16, v6
	s_wait_loadcnt 0x1
	v_lshrrev_b32_e32 v15, 16, v10
	v_cvt_f32_f16_e32 v8, v6
	v_cvt_f32_f16_e32 v14, v10
	;; [unrolled: 1-line block ×3, first 2 shown]
	s_delay_alu instid0(VALU_DEP_4) | instskip(NEXT) | instid1(VALU_DEP_1)
	v_cvt_f32_f16_e32 v15, v15
	v_pk_add_f32 v[8:9], v[8:9], v[14:15]
	s_delay_alu instid0(VALU_DEP_1) | instskip(SKIP_1) | instid1(VALU_DEP_1)
	v_fma_mixlo_f16 v3, v12, v8, 0
	s_wait_loadcnt 0x0
	v_mul_f16_e32 v3, v4, v3
	s_delay_alu instid0(VALU_DEP_1) | instskip(NEXT) | instid1(VALU_DEP_1)
	v_cvt_f32_f16_e32 v3, v3
	v_div_scale_f32 v6, null, v13, v13, v3
	v_div_scale_f32 v15, vcc_lo, v3, v13, v3
	s_delay_alu instid0(VALU_DEP_2) | instskip(SKIP_1) | instid1(TRANS32_DEP_1)
	v_rcp_f32_e32 v10, v6
	v_nop
	v_fma_f32 v14, -v6, v10, 1.0
	s_delay_alu instid0(VALU_DEP_1) | instskip(NEXT) | instid1(VALU_DEP_1)
	v_fmac_f32_e32 v10, v14, v10
	v_mul_f32_e32 v14, v15, v10
	s_delay_alu instid0(VALU_DEP_1) | instskip(NEXT) | instid1(VALU_DEP_1)
	v_fma_f32 v16, -v6, v14, v15
	v_fmac_f32_e32 v14, v16, v10
	s_delay_alu instid0(VALU_DEP_1) | instskip(NEXT) | instid1(VALU_DEP_1)
	v_dual_fma_f32 v6, -v6, v14, v15 :: v_dual_lshrrev_b32 v15, 16, v11
	v_div_fmas_f32 v10, v6, v10, v14
	v_lshrrev_b32_e32 v14, 16, v7
	v_cvt_f32_f16_e32 v6, v7
	s_delay_alu instid0(VALU_DEP_3) | instskip(SKIP_1) | instid1(VALU_DEP_4)
	v_div_fixup_f32 v3, v10, v13, v3
	v_cvt_f32_f16_e32 v10, v11
	v_cvt_f32_f16_e32 v7, v14
	;; [unrolled: 1-line block ×3, first 2 shown]
	v_cvt_pk_f16_f32 v14, v8, v9
	v_minmax_num_f32 v3, v3, s5, 0xc3e00000
	v_mov_b32_e32 v8, 0x7f
	s_delay_alu instid0(VALU_DEP_4) | instskip(SKIP_1) | instid1(VALU_DEP_4)
	v_pk_add_f32 v[6:7], v[6:7], v[10:11]
	v_mov_b32_e32 v10, 0x7f
	v_and_b32_e32 v11, 0x7fffffff, v3
	s_delay_alu instid0(VALU_DEP_3)
	v_cvt_pk_f16_f32 v15, v6, v7
	global_store_b64 v2, v[14:15], s[16:17] scale_offset
	s_wait_xcnt 0x0
	v_cmpx_gt_u32_e32 0x43f00000, v11
	s_cbranch_execz .LBB6_106
; %bb.101:                              ;   in Loop: Header=BB6_75 Depth=1
	s_mov_b32 s9, exec_lo
                                        ; implicit-def: $vgpr8
	v_cmpx_lt_u32_e32 0x3c7fffff, v11
	s_xor_b32 s9, exec_lo, s9
; %bb.102:                              ;   in Loop: Header=BB6_75 Depth=1
	v_bfe_u32 v8, v3, 20, 1
	s_delay_alu instid0(VALU_DEP_1) | instskip(NEXT) | instid1(VALU_DEP_1)
	v_add3_u32 v8, v3, v8, 0x407ffff
	v_lshrrev_b32_e32 v8, 20, v8
; %bb.103:                              ;   in Loop: Header=BB6_75 Depth=1
	s_and_not1_saveexec_b32 s9, s9
; %bb.104:                              ;   in Loop: Header=BB6_75 Depth=1
	v_add_f32_e64 v8, 0x46800000, |v3|
; %bb.105:                              ;   in Loop: Header=BB6_75 Depth=1
	s_or_b32 exec_lo, exec_lo, s9
.LBB6_106:                              ;   in Loop: Header=BB6_75 Depth=1
	s_delay_alu instid0(SALU_CYCLE_1) | instskip(SKIP_3) | instid1(VALU_DEP_1)
	s_or_b32 exec_lo, exec_lo, s8
	v_lshrrev_b32_e32 v4, 16, v4
	v_fma_mixlo_f16 v9, v12, v9, 0
	s_mov_b32 s8, exec_lo
	v_mul_f16_e32 v4, v4, v9
	s_delay_alu instid0(VALU_DEP_1) | instskip(NEXT) | instid1(VALU_DEP_1)
	v_cvt_f32_f16_e32 v4, v4
	v_div_scale_f32 v9, null, v13, v13, v4
	s_delay_alu instid0(VALU_DEP_1) | instskip(SKIP_1) | instid1(TRANS32_DEP_1)
	v_rcp_f32_e32 v11, v9
	v_nop
	v_fma_f32 v14, -v9, v11, 1.0
	s_delay_alu instid0(VALU_DEP_1) | instskip(SKIP_1) | instid1(VALU_DEP_1)
	v_fmac_f32_e32 v11, v14, v11
	v_div_scale_f32 v14, vcc_lo, v4, v13, v4
	v_mul_f32_e32 v15, v14, v11
	s_delay_alu instid0(VALU_DEP_1) | instskip(NEXT) | instid1(VALU_DEP_1)
	v_fma_f32 v16, -v9, v15, v14
	v_fmac_f32_e32 v15, v16, v11
	s_delay_alu instid0(VALU_DEP_1) | instskip(NEXT) | instid1(VALU_DEP_1)
	v_fma_f32 v9, -v9, v15, v14
	v_div_fmas_f32 v9, v9, v11, v15
	s_delay_alu instid0(VALU_DEP_1) | instskip(NEXT) | instid1(VALU_DEP_1)
	v_div_fixup_f32 v4, v9, v13, v4
	v_minmax_num_f32 v4, v4, s5, 0xc3e00000
	s_delay_alu instid0(VALU_DEP_1) | instskip(NEXT) | instid1(VALU_DEP_1)
	v_and_b32_e32 v9, 0x7fffffff, v4
	v_cmpx_gt_u32_e32 0x43f00000, v9
	s_cbranch_execz .LBB6_112
; %bb.107:                              ;   in Loop: Header=BB6_75 Depth=1
	s_mov_b32 s9, exec_lo
                                        ; implicit-def: $vgpr10
	v_cmpx_lt_u32_e32 0x3c7fffff, v9
	s_xor_b32 s9, exec_lo, s9
; %bb.108:                              ;   in Loop: Header=BB6_75 Depth=1
	v_bfe_u32 v9, v4, 20, 1
	s_delay_alu instid0(VALU_DEP_1) | instskip(NEXT) | instid1(VALU_DEP_1)
	v_add3_u32 v9, v4, v9, 0x407ffff
	v_lshrrev_b32_e32 v10, 20, v9
; %bb.109:                              ;   in Loop: Header=BB6_75 Depth=1
	s_and_not1_saveexec_b32 s9, s9
; %bb.110:                              ;   in Loop: Header=BB6_75 Depth=1
	v_add_f32_e64 v10, 0x46800000, |v4|
; %bb.111:                              ;   in Loop: Header=BB6_75 Depth=1
	s_or_b32 exec_lo, exec_lo, s9
.LBB6_112:                              ;   in Loop: Header=BB6_75 Depth=1
	s_delay_alu instid0(SALU_CYCLE_1) | instskip(SKIP_2) | instid1(VALU_DEP_1)
	s_or_b32 exec_lo, exec_lo, s8
	v_fma_mixlo_f16 v6, v12, v6, 0
	s_mov_b32 s8, exec_lo
	v_mul_f16_e32 v6, v5, v6
	s_delay_alu instid0(VALU_DEP_1) | instskip(NEXT) | instid1(VALU_DEP_1)
	v_cvt_f32_f16_e32 v6, v6
	v_div_scale_f32 v9, null, v13, v13, v6
	v_div_scale_f32 v15, vcc_lo, v6, v13, v6
	s_delay_alu instid0(VALU_DEP_2) | instskip(SKIP_1) | instid1(TRANS32_DEP_1)
	v_rcp_f32_e32 v11, v9
	v_nop
	v_fma_f32 v14, -v9, v11, 1.0
	s_delay_alu instid0(VALU_DEP_1) | instskip(NEXT) | instid1(VALU_DEP_1)
	v_fmac_f32_e32 v11, v14, v11
	v_mul_f32_e32 v14, v15, v11
	s_delay_alu instid0(VALU_DEP_1) | instskip(NEXT) | instid1(VALU_DEP_1)
	v_fma_f32 v16, -v9, v14, v15
	v_fmac_f32_e32 v14, v16, v11
	s_delay_alu instid0(VALU_DEP_1) | instskip(NEXT) | instid1(VALU_DEP_1)
	v_fma_f32 v9, -v9, v14, v15
	v_div_fmas_f32 v9, v9, v11, v14
	v_mov_b32_e32 v11, 0x7f
	s_delay_alu instid0(VALU_DEP_2) | instskip(NEXT) | instid1(VALU_DEP_1)
	v_div_fixup_f32 v6, v9, v13, v6
	v_minmax_num_f32 v9, v6, s5, 0xc3e00000
	v_mov_b32_e32 v6, 0x7f
	s_delay_alu instid0(VALU_DEP_2) | instskip(NEXT) | instid1(VALU_DEP_1)
	v_and_b32_e32 v14, 0x7fffffff, v9
	v_cmpx_gt_u32_e32 0x43f00000, v14
	s_cbranch_execz .LBB6_118
; %bb.113:                              ;   in Loop: Header=BB6_75 Depth=1
	s_mov_b32 s9, exec_lo
                                        ; implicit-def: $vgpr11
	v_cmpx_lt_u32_e32 0x3c7fffff, v14
	s_xor_b32 s9, exec_lo, s9
; %bb.114:                              ;   in Loop: Header=BB6_75 Depth=1
	v_bfe_u32 v11, v9, 20, 1
	s_delay_alu instid0(VALU_DEP_1) | instskip(NEXT) | instid1(VALU_DEP_1)
	v_add3_u32 v11, v9, v11, 0x407ffff
	v_lshrrev_b32_e32 v11, 20, v11
; %bb.115:                              ;   in Loop: Header=BB6_75 Depth=1
	s_and_not1_saveexec_b32 s9, s9
; %bb.116:                              ;   in Loop: Header=BB6_75 Depth=1
	v_add_f32_e64 v11, 0x46800000, |v9|
; %bb.117:                              ;   in Loop: Header=BB6_75 Depth=1
	s_or_b32 exec_lo, exec_lo, s9
.LBB6_118:                              ;   in Loop: Header=BB6_75 Depth=1
	s_delay_alu instid0(SALU_CYCLE_1) | instskip(SKIP_3) | instid1(VALU_DEP_1)
	s_or_b32 exec_lo, exec_lo, s8
	v_lshrrev_b32_e32 v5, 16, v5
	v_fma_mixlo_f16 v7, v12, v7, 0
	s_mov_b32 s8, exec_lo
	v_mul_f16_e32 v5, v5, v7
	s_delay_alu instid0(VALU_DEP_1) | instskip(NEXT) | instid1(VALU_DEP_1)
	v_cvt_f32_f16_e32 v5, v5
	v_div_scale_f32 v7, null, v13, v13, v5
	s_delay_alu instid0(VALU_DEP_1) | instskip(SKIP_1) | instid1(TRANS32_DEP_1)
	v_rcp_f32_e32 v14, v7
	v_nop
	v_fma_f32 v15, -v7, v14, 1.0
	s_delay_alu instid0(VALU_DEP_1) | instskip(SKIP_1) | instid1(VALU_DEP_1)
	v_fmac_f32_e32 v14, v15, v14
	v_div_scale_f32 v15, vcc_lo, v5, v13, v5
	v_mul_f32_e32 v16, v15, v14
	s_delay_alu instid0(VALU_DEP_1) | instskip(NEXT) | instid1(VALU_DEP_1)
	v_fma_f32 v17, -v7, v16, v15
	v_fmac_f32_e32 v16, v17, v14
	s_delay_alu instid0(VALU_DEP_1) | instskip(NEXT) | instid1(VALU_DEP_1)
	v_fma_f32 v7, -v7, v16, v15
	v_div_fmas_f32 v7, v7, v14, v16
	s_delay_alu instid0(VALU_DEP_1) | instskip(NEXT) | instid1(VALU_DEP_1)
	v_div_fixup_f32 v5, v7, v13, v5
	v_minmax_num_f32 v5, v5, s5, 0xc3e00000
	s_delay_alu instid0(VALU_DEP_1) | instskip(NEXT) | instid1(VALU_DEP_1)
	v_and_b32_e32 v7, 0x7fffffff, v5
	v_cmpx_gt_u32_e32 0x43f00000, v7
	s_cbranch_execz .LBB6_124
; %bb.119:                              ;   in Loop: Header=BB6_75 Depth=1
	s_mov_b32 s9, exec_lo
                                        ; implicit-def: $vgpr6
	v_cmpx_lt_u32_e32 0x3c7fffff, v7
	s_xor_b32 s9, exec_lo, s9
; %bb.120:                              ;   in Loop: Header=BB6_75 Depth=1
	v_bfe_u32 v6, v5, 20, 1
	s_delay_alu instid0(VALU_DEP_1) | instskip(NEXT) | instid1(VALU_DEP_1)
	v_add3_u32 v6, v5, v6, 0x407ffff
	v_lshrrev_b32_e32 v6, 20, v6
; %bb.121:                              ;   in Loop: Header=BB6_75 Depth=1
	s_and_not1_saveexec_b32 s9, s9
; %bb.122:                              ;   in Loop: Header=BB6_75 Depth=1
	v_add_f32_e64 v6, 0x46800000, |v5|
; %bb.123:                              ;   in Loop: Header=BB6_75 Depth=1
	s_or_b32 exec_lo, exec_lo, s9
.LBB6_124:                              ;   in Loop: Header=BB6_75 Depth=1
	s_delay_alu instid0(SALU_CYCLE_1) | instskip(SKIP_1) | instid1(VALU_DEP_2)
	s_or_b32 exec_lo, exec_lo, s8
	v_dual_lshrrev_b32 v7, 24, v9 :: v_dual_lshrrev_b32 v4, 24, v4
	v_dual_lshrrev_b32 v9, 24, v3 :: v_dual_lshlrev_b32 v6, 24, v6
	v_and_b32_e32 v5, 0x80000000, v5
	s_delay_alu instid0(VALU_DEP_3) | instskip(NEXT) | instid1(VALU_DEP_4)
	v_and_b32_e32 v7, 0x80, v7
	v_and_b32_e32 v4, 0x80, v4
	;; [unrolled: 1-line block ×3, first 2 shown]
	s_mov_b32 s9, -1
	s_mov_b32 s8, exec_lo
	v_and_or_b32 v7, 0xff, v11, v7
	v_and_or_b32 v4, 0xff, v10, v4
	;; [unrolled: 1-line block ×3, first 2 shown]
	s_delay_alu instid0(VALU_DEP_3) | instskip(NEXT) | instid1(VALU_DEP_3)
	v_dual_mov_b32 v3, v1 :: v_dual_lshlrev_b32 v7, 16, v7
	v_lshlrev_b32_e32 v10, 8, v4
	v_add_nc_u32_e32 v4, s2, v0
	s_delay_alu instid0(VALU_DEP_3) | instskip(NEXT) | instid1(VALU_DEP_4)
	v_or3_b32 v5, v5, v6, v7
	v_lshl_add_u64 v[6:7], v[2:3], 2, s[0:1]
	s_delay_alu instid0(VALU_DEP_2)
	v_or3_b32 v3, v5, v10, v8
	global_store_b32 v[6:7], v3, off
	s_wait_xcnt 0x0
	v_cmpx_gt_u32_e64 s33, v4
	s_cbranch_execz .LBB6_73
; %bb.125:                              ;   in Loop: Header=BB6_75 Depth=1
	s_clause 0x2
	global_load_b64 v[8:9], v4, s[10:11] scale_offset
	global_load_b64 v[14:15], v4, s[16:17] scale_offset
	;; [unrolled: 1-line block ×3, first 2 shown]
	s_mov_b32 s9, exec_lo
	s_wait_loadcnt 0x1
	v_dual_lshrrev_b32 v3, 16, v8 :: v_dual_lshrrev_b32 v5, 16, v14
	v_cvt_f32_f16_e32 v10, v8
	v_cvt_f32_f16_e32 v16, v14
	s_delay_alu instid0(VALU_DEP_3) | instskip(NEXT) | instid1(VALU_DEP_4)
	v_cvt_f32_f16_e32 v11, v3
	v_cvt_f32_f16_e32 v17, v5
	s_delay_alu instid0(VALU_DEP_1) | instskip(NEXT) | instid1(VALU_DEP_1)
	v_pk_add_f32 v[10:11], v[10:11], v[16:17]
	v_fma_mixlo_f16 v3, v12, v10, 0
	s_wait_loadcnt 0x0
	s_delay_alu instid0(VALU_DEP_1) | instskip(NEXT) | instid1(VALU_DEP_1)
	v_mul_f16_e32 v3, v6, v3
	v_cvt_f32_f16_e32 v3, v3
	s_delay_alu instid0(VALU_DEP_1) | instskip(SKIP_1) | instid1(VALU_DEP_2)
	v_div_scale_f32 v5, null, v13, v13, v3
	v_div_scale_f32 v16, vcc_lo, v3, v13, v3
	v_rcp_f32_e32 v8, v5
	v_nop
	s_delay_alu instid0(TRANS32_DEP_1) | instskip(NEXT) | instid1(VALU_DEP_1)
	v_fma_f32 v14, -v5, v8, 1.0
	v_fmac_f32_e32 v8, v14, v8
	s_delay_alu instid0(VALU_DEP_1) | instskip(NEXT) | instid1(VALU_DEP_1)
	v_mul_f32_e32 v14, v16, v8
	v_fma_f32 v17, -v5, v14, v16
	s_delay_alu instid0(VALU_DEP_1) | instskip(NEXT) | instid1(VALU_DEP_1)
	v_dual_fmac_f32 v14, v17, v8 :: v_dual_lshrrev_b32 v17, 16, v15
	v_dual_fma_f32 v5, -v5, v14, v16 :: v_dual_lshrrev_b32 v16, 16, v9
	s_delay_alu instid0(VALU_DEP_1) | instskip(SKIP_2) | instid1(VALU_DEP_4)
	v_div_fmas_f32 v5, v5, v8, v14
	v_cvt_f32_f16_e32 v8, v9
	v_cvt_f32_f16_e32 v14, v15
	;; [unrolled: 1-line block ×4, first 2 shown]
	v_div_fixup_f32 v3, v5, v13, v3
	v_mov_b32_e32 v5, 0x7f
	v_cvt_pk_f16_f32 v16, v10, v11
	v_mov_b32_e32 v10, 0x7f
	v_pk_add_f32 v[8:9], v[8:9], v[14:15]
	v_minmax_num_f32 v3, v3, s5, 0xc3e00000
	s_delay_alu instid0(VALU_DEP_2) | instskip(NEXT) | instid1(VALU_DEP_2)
	v_cvt_pk_f16_f32 v17, v8, v9
	v_and_b32_e32 v14, 0x7fffffff, v3
	global_store_b64 v4, v[16:17], s[16:17] scale_offset
	s_wait_xcnt 0x0
	v_cmpx_gt_u32_e32 0x43f00000, v14
	s_cbranch_execz .LBB6_131
; %bb.126:                              ;   in Loop: Header=BB6_75 Depth=1
	s_mov_b32 s12, exec_lo
                                        ; implicit-def: $vgpr10
	v_cmpx_lt_u32_e32 0x3c7fffff, v14
	s_xor_b32 s12, exec_lo, s12
; %bb.127:                              ;   in Loop: Header=BB6_75 Depth=1
	v_bfe_u32 v10, v3, 20, 1
	s_delay_alu instid0(VALU_DEP_1) | instskip(NEXT) | instid1(VALU_DEP_1)
	v_add3_u32 v10, v3, v10, 0x407ffff
	v_lshrrev_b32_e32 v10, 20, v10
; %bb.128:                              ;   in Loop: Header=BB6_75 Depth=1
	s_and_not1_saveexec_b32 s12, s12
; %bb.129:                              ;   in Loop: Header=BB6_75 Depth=1
	v_add_f32_e64 v10, 0x46800000, |v3|
; %bb.130:                              ;   in Loop: Header=BB6_75 Depth=1
	s_or_b32 exec_lo, exec_lo, s12
.LBB6_131:                              ;   in Loop: Header=BB6_75 Depth=1
	s_delay_alu instid0(SALU_CYCLE_1) | instskip(SKIP_3) | instid1(VALU_DEP_1)
	s_or_b32 exec_lo, exec_lo, s9
	v_lshrrev_b32_e32 v6, 16, v6
	v_fma_mixlo_f16 v11, v12, v11, 0
	s_mov_b32 s9, exec_lo
	v_mul_f16_e32 v6, v6, v11
	s_delay_alu instid0(VALU_DEP_1) | instskip(NEXT) | instid1(VALU_DEP_1)
	v_cvt_f32_f16_e32 v6, v6
	v_div_scale_f32 v11, null, v13, v13, v6
	s_delay_alu instid0(VALU_DEP_1) | instskip(SKIP_1) | instid1(TRANS32_DEP_1)
	v_rcp_f32_e32 v14, v11
	v_nop
	v_fma_f32 v15, -v11, v14, 1.0
	s_delay_alu instid0(VALU_DEP_1) | instskip(SKIP_1) | instid1(VALU_DEP_1)
	v_fmac_f32_e32 v14, v15, v14
	v_div_scale_f32 v15, vcc_lo, v6, v13, v6
	v_mul_f32_e32 v16, v15, v14
	s_delay_alu instid0(VALU_DEP_1) | instskip(NEXT) | instid1(VALU_DEP_1)
	v_fma_f32 v17, -v11, v16, v15
	v_fmac_f32_e32 v16, v17, v14
	s_delay_alu instid0(VALU_DEP_1) | instskip(NEXT) | instid1(VALU_DEP_1)
	v_fma_f32 v11, -v11, v16, v15
	v_div_fmas_f32 v11, v11, v14, v16
	s_delay_alu instid0(VALU_DEP_1) | instskip(NEXT) | instid1(VALU_DEP_1)
	v_div_fixup_f32 v6, v11, v13, v6
	v_minmax_num_f32 v6, v6, s5, 0xc3e00000
	s_delay_alu instid0(VALU_DEP_1) | instskip(NEXT) | instid1(VALU_DEP_1)
	v_and_b32_e32 v11, 0x7fffffff, v6
	v_cmpx_gt_u32_e32 0x43f00000, v11
	s_cbranch_execz .LBB6_137
; %bb.132:                              ;   in Loop: Header=BB6_75 Depth=1
	s_mov_b32 s12, exec_lo
                                        ; implicit-def: $vgpr5
	v_cmpx_lt_u32_e32 0x3c7fffff, v11
	s_xor_b32 s12, exec_lo, s12
; %bb.133:                              ;   in Loop: Header=BB6_75 Depth=1
	v_bfe_u32 v5, v6, 20, 1
	s_delay_alu instid0(VALU_DEP_1) | instskip(NEXT) | instid1(VALU_DEP_1)
	v_add3_u32 v5, v6, v5, 0x407ffff
	v_lshrrev_b32_e32 v5, 20, v5
; %bb.134:                              ;   in Loop: Header=BB6_75 Depth=1
	s_and_not1_saveexec_b32 s12, s12
; %bb.135:                              ;   in Loop: Header=BB6_75 Depth=1
	v_add_f32_e64 v5, 0x46800000, |v6|
; %bb.136:                              ;   in Loop: Header=BB6_75 Depth=1
	s_or_b32 exec_lo, exec_lo, s12
.LBB6_137:                              ;   in Loop: Header=BB6_75 Depth=1
	s_delay_alu instid0(SALU_CYCLE_1) | instskip(SKIP_2) | instid1(VALU_DEP_1)
	s_or_b32 exec_lo, exec_lo, s9
	v_fma_mixlo_f16 v8, v12, v8, 0
	s_mov_b32 s9, exec_lo
	v_mul_f16_e32 v8, v7, v8
	s_delay_alu instid0(VALU_DEP_1) | instskip(NEXT) | instid1(VALU_DEP_1)
	v_cvt_f32_f16_e32 v8, v8
	v_div_scale_f32 v11, null, v13, v13, v8
	v_div_scale_f32 v16, vcc_lo, v8, v13, v8
	s_delay_alu instid0(VALU_DEP_2) | instskip(SKIP_1) | instid1(TRANS32_DEP_1)
	v_rcp_f32_e32 v14, v11
	v_nop
	v_fma_f32 v15, -v11, v14, 1.0
	s_delay_alu instid0(VALU_DEP_1) | instskip(NEXT) | instid1(VALU_DEP_1)
	v_fmac_f32_e32 v14, v15, v14
	v_mul_f32_e32 v15, v16, v14
	s_delay_alu instid0(VALU_DEP_1) | instskip(NEXT) | instid1(VALU_DEP_1)
	v_fma_f32 v17, -v11, v15, v16
	v_fmac_f32_e32 v15, v17, v14
	s_delay_alu instid0(VALU_DEP_1) | instskip(NEXT) | instid1(VALU_DEP_1)
	v_fma_f32 v11, -v11, v15, v16
	v_div_fmas_f32 v11, v11, v14, v15
	v_mov_b32_e32 v14, 0x7f
	s_delay_alu instid0(VALU_DEP_2) | instskip(NEXT) | instid1(VALU_DEP_1)
	v_div_fixup_f32 v8, v11, v13, v8
	v_minmax_num_f32 v11, v8, s5, 0xc3e00000
	v_mov_b32_e32 v8, 0x7f
	s_delay_alu instid0(VALU_DEP_2) | instskip(NEXT) | instid1(VALU_DEP_1)
	v_and_b32_e32 v15, 0x7fffffff, v11
	v_cmpx_gt_u32_e32 0x43f00000, v15
	s_cbranch_execz .LBB6_143
; %bb.138:                              ;   in Loop: Header=BB6_75 Depth=1
	s_mov_b32 s12, exec_lo
                                        ; implicit-def: $vgpr14
	v_cmpx_lt_u32_e32 0x3c7fffff, v15
	s_xor_b32 s12, exec_lo, s12
; %bb.139:                              ;   in Loop: Header=BB6_75 Depth=1
	v_bfe_u32 v14, v11, 20, 1
	s_delay_alu instid0(VALU_DEP_1) | instskip(NEXT) | instid1(VALU_DEP_1)
	v_add3_u32 v14, v11, v14, 0x407ffff
	v_lshrrev_b32_e32 v14, 20, v14
; %bb.140:                              ;   in Loop: Header=BB6_75 Depth=1
	s_and_not1_saveexec_b32 s12, s12
; %bb.141:                              ;   in Loop: Header=BB6_75 Depth=1
	v_add_f32_e64 v14, 0x46800000, |v11|
; %bb.142:                              ;   in Loop: Header=BB6_75 Depth=1
	s_or_b32 exec_lo, exec_lo, s12
.LBB6_143:                              ;   in Loop: Header=BB6_75 Depth=1
	s_delay_alu instid0(SALU_CYCLE_1) | instskip(SKIP_3) | instid1(VALU_DEP_1)
	s_or_b32 exec_lo, exec_lo, s9
	v_lshrrev_b32_e32 v7, 16, v7
	v_fma_mixlo_f16 v9, v12, v9, 0
	s_mov_b32 s9, exec_lo
	v_mul_f16_e32 v7, v7, v9
	s_delay_alu instid0(VALU_DEP_1) | instskip(NEXT) | instid1(VALU_DEP_1)
	v_cvt_f32_f16_e32 v7, v7
	v_div_scale_f32 v9, null, v13, v13, v7
	s_delay_alu instid0(VALU_DEP_1) | instskip(SKIP_1) | instid1(TRANS32_DEP_1)
	v_rcp_f32_e32 v15, v9
	v_nop
	v_fma_f32 v16, -v9, v15, 1.0
	s_delay_alu instid0(VALU_DEP_1) | instskip(SKIP_1) | instid1(VALU_DEP_1)
	v_fmac_f32_e32 v15, v16, v15
	v_div_scale_f32 v16, vcc_lo, v7, v13, v7
	v_mul_f32_e32 v17, v16, v15
	s_delay_alu instid0(VALU_DEP_1) | instskip(NEXT) | instid1(VALU_DEP_1)
	v_fma_f32 v18, -v9, v17, v16
	v_fmac_f32_e32 v17, v18, v15
	s_delay_alu instid0(VALU_DEP_1) | instskip(NEXT) | instid1(VALU_DEP_1)
	v_fma_f32 v9, -v9, v17, v16
	v_div_fmas_f32 v9, v9, v15, v17
	s_delay_alu instid0(VALU_DEP_1) | instskip(NEXT) | instid1(VALU_DEP_1)
	v_div_fixup_f32 v7, v9, v13, v7
	v_minmax_num_f32 v7, v7, s5, 0xc3e00000
	s_delay_alu instid0(VALU_DEP_1) | instskip(NEXT) | instid1(VALU_DEP_1)
	v_and_b32_e32 v9, 0x7fffffff, v7
	v_cmpx_gt_u32_e32 0x43f00000, v9
	s_cbranch_execz .LBB6_149
; %bb.144:                              ;   in Loop: Header=BB6_75 Depth=1
	s_mov_b32 s12, exec_lo
                                        ; implicit-def: $vgpr8
	v_cmpx_lt_u32_e32 0x3c7fffff, v9
	s_xor_b32 s12, exec_lo, s12
; %bb.145:                              ;   in Loop: Header=BB6_75 Depth=1
	v_bfe_u32 v8, v7, 20, 1
	s_delay_alu instid0(VALU_DEP_1) | instskip(NEXT) | instid1(VALU_DEP_1)
	v_add3_u32 v8, v7, v8, 0x407ffff
	v_lshrrev_b32_e32 v8, 20, v8
; %bb.146:                              ;   in Loop: Header=BB6_75 Depth=1
	s_and_not1_saveexec_b32 s12, s12
; %bb.147:                              ;   in Loop: Header=BB6_75 Depth=1
	v_add_f32_e64 v8, 0x46800000, |v7|
; %bb.148:                              ;   in Loop: Header=BB6_75 Depth=1
	s_or_b32 exec_lo, exec_lo, s12
.LBB6_149:                              ;   in Loop: Header=BB6_75 Depth=1
	s_delay_alu instid0(SALU_CYCLE_1) | instskip(SKIP_1) | instid1(VALU_DEP_2)
	s_or_b32 exec_lo, exec_lo, s9
	v_dual_lshrrev_b32 v9, 24, v11 :: v_dual_lshrrev_b32 v6, 24, v6
	v_dual_lshrrev_b32 v3, 24, v3 :: v_dual_lshlrev_b32 v8, 24, v8
	v_and_b32_e32 v7, 0x80000000, v7
	s_delay_alu instid0(VALU_DEP_3) | instskip(NEXT) | instid1(VALU_DEP_4)
	v_and_b32_e32 v9, 0x80, v9
	v_and_b32_e32 v6, 0x80, v6
	;; [unrolled: 1-line block ×3, first 2 shown]
	s_mov_b32 s12, -1
	s_mov_b32 s9, exec_lo
	v_and_or_b32 v9, 0xff, v14, v9
	v_and_or_b32 v6, 0xff, v5, v6
	;; [unrolled: 1-line block ×3, first 2 shown]
	v_dual_mov_b32 v5, v1 :: v_dual_add_nc_u32 v0, s3, v0
	s_delay_alu instid0(VALU_DEP_3) | instskip(NEXT) | instid1(VALU_DEP_2)
	v_dual_lshlrev_b32 v9, 16, v9 :: v_dual_lshlrev_b32 v6, 8, v6
	v_lshl_add_u64 v[4:5], v[4:5], 2, s[0:1]
	s_delay_alu instid0(VALU_DEP_2) | instskip(NEXT) | instid1(VALU_DEP_1)
	v_or3_b32 v7, v7, v8, v9
	v_or3_b32 v3, v7, v6, v3
	global_store_b32 v[4:5], v3, off
	s_wait_xcnt 0x0
	v_cmpx_gt_u32_e64 s33, v0
	s_cbranch_execz .LBB6_72
; %bb.150:                              ;   in Loop: Header=BB6_75 Depth=1
	s_clause 0x2
	global_load_b64 v[6:7], v0, s[10:11] scale_offset
	global_load_b64 v[10:11], v0, s[16:17] scale_offset
	;; [unrolled: 1-line block ×3, first 2 shown]
	s_mov_b32 s12, exec_lo
	s_wait_loadcnt 0x2
	v_lshrrev_b32_e32 v3, 16, v6
	s_wait_loadcnt 0x1
	v_lshrrev_b32_e32 v15, 16, v10
	v_cvt_f32_f16_e32 v8, v6
	v_cvt_f32_f16_e32 v14, v10
	v_cvt_f32_f16_e32 v9, v3
	s_delay_alu instid0(VALU_DEP_4) | instskip(NEXT) | instid1(VALU_DEP_1)
	v_cvt_f32_f16_e32 v15, v15
	v_pk_add_f32 v[8:9], v[8:9], v[14:15]
	s_delay_alu instid0(VALU_DEP_1) | instskip(SKIP_1) | instid1(VALU_DEP_1)
	v_fma_mixlo_f16 v3, v12, v8, 0
	s_wait_loadcnt 0x0
	v_mul_f16_e32 v3, v4, v3
	s_delay_alu instid0(VALU_DEP_1) | instskip(NEXT) | instid1(VALU_DEP_1)
	v_cvt_f32_f16_e32 v3, v3
	v_div_scale_f32 v6, null, v13, v13, v3
	v_div_scale_f32 v15, vcc_lo, v3, v13, v3
	s_delay_alu instid0(VALU_DEP_2) | instskip(SKIP_1) | instid1(TRANS32_DEP_1)
	v_rcp_f32_e32 v10, v6
	v_nop
	v_fma_f32 v14, -v6, v10, 1.0
	s_delay_alu instid0(VALU_DEP_1) | instskip(NEXT) | instid1(VALU_DEP_1)
	v_fmac_f32_e32 v10, v14, v10
	v_mul_f32_e32 v14, v15, v10
	s_delay_alu instid0(VALU_DEP_1) | instskip(NEXT) | instid1(VALU_DEP_1)
	v_fma_f32 v16, -v6, v14, v15
	v_fmac_f32_e32 v14, v16, v10
	s_delay_alu instid0(VALU_DEP_1) | instskip(NEXT) | instid1(VALU_DEP_1)
	v_dual_fma_f32 v6, -v6, v14, v15 :: v_dual_lshrrev_b32 v15, 16, v11
	v_div_fmas_f32 v10, v6, v10, v14
	v_lshrrev_b32_e32 v14, 16, v7
	v_cvt_f32_f16_e32 v6, v7
	s_delay_alu instid0(VALU_DEP_3) | instskip(SKIP_1) | instid1(VALU_DEP_4)
	v_div_fixup_f32 v3, v10, v13, v3
	v_cvt_f32_f16_e32 v10, v11
	v_cvt_f32_f16_e32 v7, v14
	;; [unrolled: 1-line block ×3, first 2 shown]
	v_cvt_pk_f16_f32 v14, v8, v9
	v_minmax_num_f32 v3, v3, s5, 0xc3e00000
	v_mov_b32_e32 v8, 0x7f
	s_delay_alu instid0(VALU_DEP_4) | instskip(SKIP_1) | instid1(VALU_DEP_4)
	v_pk_add_f32 v[6:7], v[6:7], v[10:11]
	v_mov_b32_e32 v10, 0x7f
	v_and_b32_e32 v11, 0x7fffffff, v3
	s_delay_alu instid0(VALU_DEP_3)
	v_cvt_pk_f16_f32 v15, v6, v7
	global_store_b64 v0, v[14:15], s[16:17] scale_offset
	s_wait_xcnt 0x0
	v_cmpx_gt_u32_e32 0x43f00000, v11
	s_cbranch_execz .LBB6_156
; %bb.151:                              ;   in Loop: Header=BB6_75 Depth=1
	s_mov_b32 s13, exec_lo
                                        ; implicit-def: $vgpr8
	v_cmpx_lt_u32_e32 0x3c7fffff, v11
	s_xor_b32 s13, exec_lo, s13
; %bb.152:                              ;   in Loop: Header=BB6_75 Depth=1
	v_bfe_u32 v8, v3, 20, 1
	s_delay_alu instid0(VALU_DEP_1) | instskip(NEXT) | instid1(VALU_DEP_1)
	v_add3_u32 v8, v3, v8, 0x407ffff
	v_lshrrev_b32_e32 v8, 20, v8
; %bb.153:                              ;   in Loop: Header=BB6_75 Depth=1
	s_and_not1_saveexec_b32 s13, s13
; %bb.154:                              ;   in Loop: Header=BB6_75 Depth=1
	v_add_f32_e64 v8, 0x46800000, |v3|
; %bb.155:                              ;   in Loop: Header=BB6_75 Depth=1
	s_or_b32 exec_lo, exec_lo, s13
.LBB6_156:                              ;   in Loop: Header=BB6_75 Depth=1
	s_delay_alu instid0(SALU_CYCLE_1) | instskip(SKIP_3) | instid1(VALU_DEP_1)
	s_or_b32 exec_lo, exec_lo, s12
	v_lshrrev_b32_e32 v4, 16, v4
	v_fma_mixlo_f16 v9, v12, v9, 0
	s_mov_b32 s12, exec_lo
	v_mul_f16_e32 v4, v4, v9
	s_delay_alu instid0(VALU_DEP_1) | instskip(NEXT) | instid1(VALU_DEP_1)
	v_cvt_f32_f16_e32 v4, v4
	v_div_scale_f32 v9, null, v13, v13, v4
	s_delay_alu instid0(VALU_DEP_1) | instskip(SKIP_1) | instid1(TRANS32_DEP_1)
	v_rcp_f32_e32 v11, v9
	v_nop
	v_fma_f32 v14, -v9, v11, 1.0
	s_delay_alu instid0(VALU_DEP_1) | instskip(SKIP_1) | instid1(VALU_DEP_1)
	v_fmac_f32_e32 v11, v14, v11
	v_div_scale_f32 v14, vcc_lo, v4, v13, v4
	v_mul_f32_e32 v15, v14, v11
	s_delay_alu instid0(VALU_DEP_1) | instskip(NEXT) | instid1(VALU_DEP_1)
	v_fma_f32 v16, -v9, v15, v14
	v_fmac_f32_e32 v15, v16, v11
	s_delay_alu instid0(VALU_DEP_1) | instskip(NEXT) | instid1(VALU_DEP_1)
	v_fma_f32 v9, -v9, v15, v14
	v_div_fmas_f32 v9, v9, v11, v15
	s_delay_alu instid0(VALU_DEP_1) | instskip(NEXT) | instid1(VALU_DEP_1)
	v_div_fixup_f32 v4, v9, v13, v4
	v_minmax_num_f32 v4, v4, s5, 0xc3e00000
	s_delay_alu instid0(VALU_DEP_1) | instskip(NEXT) | instid1(VALU_DEP_1)
	v_and_b32_e32 v9, 0x7fffffff, v4
	v_cmpx_gt_u32_e32 0x43f00000, v9
	s_cbranch_execz .LBB6_162
; %bb.157:                              ;   in Loop: Header=BB6_75 Depth=1
	s_mov_b32 s13, exec_lo
                                        ; implicit-def: $vgpr10
	v_cmpx_lt_u32_e32 0x3c7fffff, v9
	s_xor_b32 s13, exec_lo, s13
; %bb.158:                              ;   in Loop: Header=BB6_75 Depth=1
	v_bfe_u32 v9, v4, 20, 1
	s_delay_alu instid0(VALU_DEP_1) | instskip(NEXT) | instid1(VALU_DEP_1)
	v_add3_u32 v9, v4, v9, 0x407ffff
	v_lshrrev_b32_e32 v10, 20, v9
; %bb.159:                              ;   in Loop: Header=BB6_75 Depth=1
	s_and_not1_saveexec_b32 s13, s13
; %bb.160:                              ;   in Loop: Header=BB6_75 Depth=1
	v_add_f32_e64 v10, 0x46800000, |v4|
; %bb.161:                              ;   in Loop: Header=BB6_75 Depth=1
	s_or_b32 exec_lo, exec_lo, s13
.LBB6_162:                              ;   in Loop: Header=BB6_75 Depth=1
	s_delay_alu instid0(SALU_CYCLE_1) | instskip(SKIP_2) | instid1(VALU_DEP_1)
	s_or_b32 exec_lo, exec_lo, s12
	v_fma_mixlo_f16 v6, v12, v6, 0
	s_mov_b32 s12, exec_lo
	v_mul_f16_e32 v6, v5, v6
	s_delay_alu instid0(VALU_DEP_1) | instskip(NEXT) | instid1(VALU_DEP_1)
	v_cvt_f32_f16_e32 v6, v6
	v_div_scale_f32 v9, null, v13, v13, v6
	v_div_scale_f32 v15, vcc_lo, v6, v13, v6
	s_delay_alu instid0(VALU_DEP_2) | instskip(SKIP_1) | instid1(TRANS32_DEP_1)
	v_rcp_f32_e32 v11, v9
	v_nop
	v_fma_f32 v14, -v9, v11, 1.0
	s_delay_alu instid0(VALU_DEP_1) | instskip(NEXT) | instid1(VALU_DEP_1)
	v_fmac_f32_e32 v11, v14, v11
	v_mul_f32_e32 v14, v15, v11
	s_delay_alu instid0(VALU_DEP_1) | instskip(NEXT) | instid1(VALU_DEP_1)
	v_fma_f32 v16, -v9, v14, v15
	v_fmac_f32_e32 v14, v16, v11
	s_delay_alu instid0(VALU_DEP_1) | instskip(NEXT) | instid1(VALU_DEP_1)
	v_fma_f32 v9, -v9, v14, v15
	v_div_fmas_f32 v9, v9, v11, v14
	v_mov_b32_e32 v11, 0x7f
	s_delay_alu instid0(VALU_DEP_2) | instskip(NEXT) | instid1(VALU_DEP_1)
	v_div_fixup_f32 v6, v9, v13, v6
	v_minmax_num_f32 v9, v6, s5, 0xc3e00000
	v_mov_b32_e32 v6, 0x7f
	s_delay_alu instid0(VALU_DEP_2) | instskip(NEXT) | instid1(VALU_DEP_1)
	v_and_b32_e32 v14, 0x7fffffff, v9
	v_cmpx_gt_u32_e32 0x43f00000, v14
	s_cbranch_execz .LBB6_168
; %bb.163:                              ;   in Loop: Header=BB6_75 Depth=1
	s_mov_b32 s13, exec_lo
                                        ; implicit-def: $vgpr11
	v_cmpx_lt_u32_e32 0x3c7fffff, v14
	s_xor_b32 s13, exec_lo, s13
; %bb.164:                              ;   in Loop: Header=BB6_75 Depth=1
	v_bfe_u32 v11, v9, 20, 1
	s_delay_alu instid0(VALU_DEP_1) | instskip(NEXT) | instid1(VALU_DEP_1)
	v_add3_u32 v11, v9, v11, 0x407ffff
	v_lshrrev_b32_e32 v11, 20, v11
; %bb.165:                              ;   in Loop: Header=BB6_75 Depth=1
	s_and_not1_saveexec_b32 s13, s13
; %bb.166:                              ;   in Loop: Header=BB6_75 Depth=1
	v_add_f32_e64 v11, 0x46800000, |v9|
; %bb.167:                              ;   in Loop: Header=BB6_75 Depth=1
	s_or_b32 exec_lo, exec_lo, s13
.LBB6_168:                              ;   in Loop: Header=BB6_75 Depth=1
	s_delay_alu instid0(SALU_CYCLE_1) | instskip(SKIP_3) | instid1(VALU_DEP_1)
	s_or_b32 exec_lo, exec_lo, s12
	v_lshrrev_b32_e32 v5, 16, v5
	v_fma_mixlo_f16 v7, v12, v7, 0
	s_mov_b32 s12, exec_lo
	v_mul_f16_e32 v5, v5, v7
	s_delay_alu instid0(VALU_DEP_1) | instskip(NEXT) | instid1(VALU_DEP_1)
	v_cvt_f32_f16_e32 v5, v5
	v_div_scale_f32 v7, null, v13, v13, v5
	s_delay_alu instid0(VALU_DEP_1) | instskip(SKIP_1) | instid1(TRANS32_DEP_1)
	v_rcp_f32_e32 v14, v7
	v_nop
	v_fma_f32 v15, -v7, v14, 1.0
	s_delay_alu instid0(VALU_DEP_1) | instskip(SKIP_1) | instid1(VALU_DEP_1)
	v_fmac_f32_e32 v14, v15, v14
	v_div_scale_f32 v15, vcc_lo, v5, v13, v5
	v_mul_f32_e32 v16, v15, v14
	s_delay_alu instid0(VALU_DEP_1) | instskip(NEXT) | instid1(VALU_DEP_1)
	v_fma_f32 v17, -v7, v16, v15
	v_fmac_f32_e32 v16, v17, v14
	s_delay_alu instid0(VALU_DEP_1) | instskip(NEXT) | instid1(VALU_DEP_1)
	v_fma_f32 v7, -v7, v16, v15
	v_div_fmas_f32 v7, v7, v14, v16
	s_delay_alu instid0(VALU_DEP_1) | instskip(NEXT) | instid1(VALU_DEP_1)
	v_div_fixup_f32 v5, v7, v13, v5
	v_minmax_num_f32 v5, v5, s5, 0xc3e00000
	s_delay_alu instid0(VALU_DEP_1) | instskip(NEXT) | instid1(VALU_DEP_1)
	v_and_b32_e32 v7, 0x7fffffff, v5
	v_cmpx_gt_u32_e32 0x43f00000, v7
	s_cbranch_execz .LBB6_71
; %bb.169:                              ;   in Loop: Header=BB6_75 Depth=1
	s_mov_b32 s13, exec_lo
                                        ; implicit-def: $vgpr6
	v_cmpx_lt_u32_e32 0x3c7fffff, v7
	s_xor_b32 s13, exec_lo, s13
; %bb.170:                              ;   in Loop: Header=BB6_75 Depth=1
	v_bfe_u32 v6, v5, 20, 1
	s_delay_alu instid0(VALU_DEP_1) | instskip(NEXT) | instid1(VALU_DEP_1)
	v_add3_u32 v6, v5, v6, 0x407ffff
	v_lshrrev_b32_e32 v6, 20, v6
; %bb.171:                              ;   in Loop: Header=BB6_75 Depth=1
	s_and_not1_saveexec_b32 s13, s13
	s_cbranch_execz .LBB6_70
; %bb.172:                              ;   in Loop: Header=BB6_75 Depth=1
	v_add_f32_e64 v6, 0x46800000, |v5|
	s_branch .LBB6_70
.LBB6_173:
	s_endpgm
	.section	.rodata,"a",@progbits
	.p2align	6, 0x0
	.amdhsa_kernel _ZN4vllm39rms_norm_dynamic_per_token_quant_kernelIN3c104HalfENS1_13Float8_e4m3fnELb1EEEvPT0_PfPKT_S9_PKffiPS7_
		.amdhsa_group_segment_fixed_size 272
		.amdhsa_private_segment_fixed_size 0
		.amdhsa_kernarg_size 312
		.amdhsa_user_sgpr_count 2
		.amdhsa_user_sgpr_dispatch_ptr 0
		.amdhsa_user_sgpr_queue_ptr 0
		.amdhsa_user_sgpr_kernarg_segment_ptr 1
		.amdhsa_user_sgpr_dispatch_id 0
		.amdhsa_user_sgpr_kernarg_preload_length 0
		.amdhsa_user_sgpr_kernarg_preload_offset 0
		.amdhsa_user_sgpr_private_segment_size 0
		.amdhsa_wavefront_size32 1
		.amdhsa_uses_dynamic_stack 0
		.amdhsa_enable_private_segment 0
		.amdhsa_system_sgpr_workgroup_id_x 1
		.amdhsa_system_sgpr_workgroup_id_y 0
		.amdhsa_system_sgpr_workgroup_id_z 0
		.amdhsa_system_sgpr_workgroup_info 0
		.amdhsa_system_vgpr_workitem_id 0
		.amdhsa_next_free_vgpr 22
		.amdhsa_next_free_sgpr 40
		.amdhsa_named_barrier_count 0
		.amdhsa_reserve_vcc 1
		.amdhsa_float_round_mode_32 0
		.amdhsa_float_round_mode_16_64 0
		.amdhsa_float_denorm_mode_32 3
		.amdhsa_float_denorm_mode_16_64 3
		.amdhsa_fp16_overflow 0
		.amdhsa_memory_ordered 1
		.amdhsa_forward_progress 1
		.amdhsa_inst_pref_size 94
		.amdhsa_round_robin_scheduling 0
		.amdhsa_exception_fp_ieee_invalid_op 0
		.amdhsa_exception_fp_denorm_src 0
		.amdhsa_exception_fp_ieee_div_zero 0
		.amdhsa_exception_fp_ieee_overflow 0
		.amdhsa_exception_fp_ieee_underflow 0
		.amdhsa_exception_fp_ieee_inexact 0
		.amdhsa_exception_int_div_zero 0
	.end_amdhsa_kernel
	.section	.text._ZN4vllm39rms_norm_dynamic_per_token_quant_kernelIN3c104HalfENS1_13Float8_e4m3fnELb1EEEvPT0_PfPKT_S9_PKffiPS7_,"axG",@progbits,_ZN4vllm39rms_norm_dynamic_per_token_quant_kernelIN3c104HalfENS1_13Float8_e4m3fnELb1EEEvPT0_PfPKT_S9_PKffiPS7_,comdat
.Lfunc_end6:
	.size	_ZN4vllm39rms_norm_dynamic_per_token_quant_kernelIN3c104HalfENS1_13Float8_e4m3fnELb1EEEvPT0_PfPKT_S9_PKffiPS7_, .Lfunc_end6-_ZN4vllm39rms_norm_dynamic_per_token_quant_kernelIN3c104HalfENS1_13Float8_e4m3fnELb1EEEvPT0_PfPKT_S9_PKffiPS7_
                                        ; -- End function
	.set _ZN4vllm39rms_norm_dynamic_per_token_quant_kernelIN3c104HalfENS1_13Float8_e4m3fnELb1EEEvPT0_PfPKT_S9_PKffiPS7_.num_vgpr, 22
	.set _ZN4vllm39rms_norm_dynamic_per_token_quant_kernelIN3c104HalfENS1_13Float8_e4m3fnELb1EEEvPT0_PfPKT_S9_PKffiPS7_.num_agpr, 0
	.set _ZN4vllm39rms_norm_dynamic_per_token_quant_kernelIN3c104HalfENS1_13Float8_e4m3fnELb1EEEvPT0_PfPKT_S9_PKffiPS7_.numbered_sgpr, 40
	.set _ZN4vllm39rms_norm_dynamic_per_token_quant_kernelIN3c104HalfENS1_13Float8_e4m3fnELb1EEEvPT0_PfPKT_S9_PKffiPS7_.num_named_barrier, 0
	.set _ZN4vllm39rms_norm_dynamic_per_token_quant_kernelIN3c104HalfENS1_13Float8_e4m3fnELb1EEEvPT0_PfPKT_S9_PKffiPS7_.private_seg_size, 0
	.set _ZN4vllm39rms_norm_dynamic_per_token_quant_kernelIN3c104HalfENS1_13Float8_e4m3fnELb1EEEvPT0_PfPKT_S9_PKffiPS7_.uses_vcc, 1
	.set _ZN4vllm39rms_norm_dynamic_per_token_quant_kernelIN3c104HalfENS1_13Float8_e4m3fnELb1EEEvPT0_PfPKT_S9_PKffiPS7_.uses_flat_scratch, 0
	.set _ZN4vllm39rms_norm_dynamic_per_token_quant_kernelIN3c104HalfENS1_13Float8_e4m3fnELb1EEEvPT0_PfPKT_S9_PKffiPS7_.has_dyn_sized_stack, 0
	.set _ZN4vllm39rms_norm_dynamic_per_token_quant_kernelIN3c104HalfENS1_13Float8_e4m3fnELb1EEEvPT0_PfPKT_S9_PKffiPS7_.has_recursion, 0
	.set _ZN4vllm39rms_norm_dynamic_per_token_quant_kernelIN3c104HalfENS1_13Float8_e4m3fnELb1EEEvPT0_PfPKT_S9_PKffiPS7_.has_indirect_call, 0
	.section	.AMDGPU.csdata,"",@progbits
; Kernel info:
; codeLenInByte = 11936
; TotalNumSgprs: 42
; NumVgprs: 22
; ScratchSize: 0
; MemoryBound: 0
; FloatMode: 240
; IeeeMode: 1
; LDSByteSize: 272 bytes/workgroup (compile time only)
; SGPRBlocks: 0
; VGPRBlocks: 1
; NumSGPRsForWavesPerEU: 42
; NumVGPRsForWavesPerEU: 22
; NamedBarCnt: 0
; Occupancy: 16
; WaveLimiterHint : 0
; COMPUTE_PGM_RSRC2:SCRATCH_EN: 0
; COMPUTE_PGM_RSRC2:USER_SGPR: 2
; COMPUTE_PGM_RSRC2:TRAP_HANDLER: 0
; COMPUTE_PGM_RSRC2:TGID_X_EN: 1
; COMPUTE_PGM_RSRC2:TGID_Y_EN: 0
; COMPUTE_PGM_RSRC2:TGID_Z_EN: 0
; COMPUTE_PGM_RSRC2:TIDIG_COMP_CNT: 0
	.section	.text._ZN4vllm39rms_norm_dynamic_per_token_quant_kernelIN3c104HalfENS1_15Float8_e4m3fnuzELb1EEEvPT0_PfPKT_S9_PKffiPS7_,"axG",@progbits,_ZN4vllm39rms_norm_dynamic_per_token_quant_kernelIN3c104HalfENS1_15Float8_e4m3fnuzELb1EEEvPT0_PfPKT_S9_PKffiPS7_,comdat
	.protected	_ZN4vllm39rms_norm_dynamic_per_token_quant_kernelIN3c104HalfENS1_15Float8_e4m3fnuzELb1EEEvPT0_PfPKT_S9_PKffiPS7_ ; -- Begin function _ZN4vllm39rms_norm_dynamic_per_token_quant_kernelIN3c104HalfENS1_15Float8_e4m3fnuzELb1EEEvPT0_PfPKT_S9_PKffiPS7_
	.globl	_ZN4vllm39rms_norm_dynamic_per_token_quant_kernelIN3c104HalfENS1_15Float8_e4m3fnuzELb1EEEvPT0_PfPKT_S9_PKffiPS7_
	.p2align	8
	.type	_ZN4vllm39rms_norm_dynamic_per_token_quant_kernelIN3c104HalfENS1_15Float8_e4m3fnuzELb1EEEvPT0_PfPKT_S9_PKffiPS7_,@function
_ZN4vllm39rms_norm_dynamic_per_token_quant_kernelIN3c104HalfENS1_15Float8_e4m3fnuzELb1EEEvPT0_PfPKT_S9_PKffiPS7_: ; @_ZN4vllm39rms_norm_dynamic_per_token_quant_kernelIN3c104HalfENS1_15Float8_e4m3fnuzELb1EEEvPT0_PfPKT_S9_PKffiPS7_
; %bb.0:
	s_clause 0x2
	s_load_b128 s[20:23], s[0:1], 0x20
	s_load_b256 s[12:19], s[0:1], 0x0
	s_load_b64 s[30:31], s[0:1], 0x30
	s_mov_b32 s29, 0
	s_getreg_b32 s33, hwreg(HW_REG_IB_STS2, 6, 4)
	s_add_nc_u64 s[26:27], s[0:1], 56
	s_wait_kmcnt 0x0
	s_and_b32 s2, s23, 3
	s_delay_alu instid0(SALU_CYCLE_1)
	s_cmp_lg_u32 s2, 0
	s_cbranch_scc0 .LBB7_35
; %bb.1:
	s_load_b32 s34, s[0:1], 0x38
	s_bfe_u32 s2, ttmp6, 0x4000c
	s_and_b32 s3, ttmp6, 15
	s_add_co_i32 s2, s2, 1
	v_mov_b32_e32 v1, 0
	s_mul_i32 s2, ttmp9, s2
	s_mov_b32 s4, s23
	s_add_co_i32 s3, s3, s2
	s_cmp_eq_u32 s33, 0
	v_cmp_gt_u32_e64 s2, s23, v0
	s_cselect_b32 s28, ttmp9, s3
	s_ashr_i32 s5, s23, 31
	s_delay_alu instid0(SALU_CYCLE_1)
	s_mul_u64 s[24:25], s[4:5], s[28:29]
	s_and_saveexec_b32 s3, s2
	s_cbranch_execz .LBB7_5
; %bb.2:
	s_wait_kmcnt 0x0
	s_cmp_lt_u32 s28, s34
	s_mov_b32 s5, 0
	s_cselect_b32 s4, 12, 18
	v_dual_mov_b32 v3, 0 :: v_dual_mov_b32 v1, 0
	s_add_nc_u64 s[6:7], s[26:27], s[4:5]
	v_mov_b32_e32 v2, v0
	s_load_u16 s4, s[6:7], 0x0
.LBB7_3:                                ; =>This Inner Loop Header: Depth=1
	s_delay_alu instid0(VALU_DEP_1) | instskip(NEXT) | instid1(VALU_DEP_1)
	v_add_nc_u64_e32 v[4:5], s[24:25], v[2:3]
	v_lshlrev_b64_e32 v[4:5], 1, v[4:5]
	s_delay_alu instid0(VALU_DEP_1)
	v_add_nc_u64_e32 v[6:7], s[16:17], v[4:5]
	v_add_nc_u64_e32 v[4:5], s[30:31], v[4:5]
	global_load_u16 v8, v[6:7], off
	global_load_u16 v9, v[4:5], off
	s_wait_loadcnt 0x1
	s_wait_xcnt 0x0
	v_cvt_f32_f16_e32 v4, v8
	s_wait_loadcnt 0x0
	v_cvt_f32_f16_e32 v5, v9
	s_wait_kmcnt 0x0
	s_delay_alu instid0(VALU_DEP_1) | instskip(NEXT) | instid1(VALU_DEP_1)
	v_dual_add_nc_u32 v2, s4, v2 :: v_dual_add_f32 v4, v4, v5
	v_cmp_le_u32_e32 vcc_lo, s23, v2
	s_delay_alu instid0(VALU_DEP_2) | instskip(SKIP_1) | instid1(SALU_CYCLE_1)
	v_fmac_f32_e32 v1, v4, v4
	s_or_b32 s5, vcc_lo, s5
	s_and_not1_b32 exec_lo, exec_lo, s5
	s_cbranch_execnz .LBB7_3
; %bb.4:
	s_or_b32 exec_lo, exec_lo, s5
.LBB7_5:
	s_delay_alu instid0(SALU_CYCLE_1) | instskip(SKIP_3) | instid1(VALU_DEP_2)
	s_or_b32 exec_lo, exec_lo, s3
	v_mbcnt_lo_u32_b32 v4, -1, 0
	s_load_b32 s3, s[26:27], 0xc
	v_and_b32_e32 v3, 0x3c0, v0
	v_cmp_ne_u32_e32 vcc_lo, 63, v4
	v_cmp_eq_u32_e64 s8, 0, v4
	v_dual_add_nc_u32 v5, 1, v4 :: v_dual_lshlrev_b32 v8, 2, v4
	v_add_co_ci_u32_e64 v2, null, 0, v4, vcc_lo
	v_cmp_gt_u32_e32 vcc_lo, 62, v4
	s_delay_alu instid0(VALU_DEP_2)
	v_lshlrev_b32_e32 v7, 2, v2
	v_cndmask_b32_e64 v6, 0, 2, vcc_lo
	v_cmp_gt_u32_e32 vcc_lo, 60, v4
	ds_bpermute_b32 v2, v7, v1
	s_wait_kmcnt 0x0
	s_and_b32 s36, s3, 0xffff
	v_add_lshl_u32 v9, v6, v4, 2
	v_sub_nc_u32_e64 v3, s36, v3 clamp
	v_add_nc_u32_e32 v6, 2, v4
	s_delay_alu instid0(VALU_DEP_2) | instskip(NEXT) | instid1(VALU_DEP_2)
	v_cmp_lt_u32_e64 s3, v5, v3
	v_cmp_lt_u32_e64 s4, v6, v3
	v_add_nc_u32_e32 v6, 4, v4
	v_cndmask_b32_e64 v5, 0, 4, vcc_lo
	v_cmp_gt_u32_e32 vcc_lo, 56, v4
	s_delay_alu instid0(VALU_DEP_3) | instskip(NEXT) | instid1(VALU_DEP_3)
	v_cmp_lt_u32_e64 s5, v6, v3
	v_add_lshl_u32 v10, v5, v4, 2
	v_cndmask_b32_e64 v5, 0, 8, vcc_lo
	v_cmp_gt_u32_e32 vcc_lo, 48, v4
	s_wait_dscnt 0x0
	v_dual_add_nc_u32 v6, 8, v4 :: v_dual_add_f32 v2, v1, v2
	s_delay_alu instid0(VALU_DEP_3) | instskip(SKIP_1) | instid1(VALU_DEP_3)
	v_add_lshl_u32 v11, v5, v4, 2
	v_cndmask_b32_e64 v5, 0, 16, vcc_lo
	v_cmp_lt_u32_e64 s6, v6, v3
	s_delay_alu instid0(VALU_DEP_4) | instskip(NEXT) | instid1(VALU_DEP_3)
	v_cndmask_b32_e64 v1, v1, v2, s3
	v_add_lshl_u32 v12, v5, v4, 2
	v_add_nc_u32_e32 v5, 16, v4
	ds_bpermute_b32 v2, v9, v1
	v_cmp_lt_u32_e64 s7, v5, v3
	v_or_b32_e32 v5, 32, v4
	s_delay_alu instid0(VALU_DEP_1) | instskip(SKIP_2) | instid1(VALU_DEP_1)
	v_cmp_lt_u32_e64 s10, v5, v3
	s_wait_dscnt 0x0
	v_add_f32_e32 v2, v1, v2
	v_cndmask_b32_e64 v1, v1, v2, s4
	ds_bpermute_b32 v2, v10, v1
	s_wait_dscnt 0x0
	v_add_f32_e32 v2, v1, v2
	s_delay_alu instid0(VALU_DEP_1) | instskip(SKIP_3) | instid1(VALU_DEP_1)
	v_cndmask_b32_e64 v1, v1, v2, s5
	ds_bpermute_b32 v2, v11, v1
	s_wait_dscnt 0x0
	v_add_f32_e32 v2, v1, v2
	v_cndmask_b32_e64 v1, v1, v2, s6
	ds_bpermute_b32 v2, v12, v1
	s_wait_dscnt 0x0
	v_add_f32_e32 v2, v1, v2
	s_delay_alu instid0(VALU_DEP_1) | instskip(SKIP_3) | instid1(VALU_DEP_1)
	v_cndmask_b32_e64 v1, v1, v2, s7
	ds_bpermute_b32 v2, v8, v1 offset:128
	s_wait_dscnt 0x0
	v_add_f32_e32 v2, v1, v2
	v_cndmask_b32_e64 v1, v1, v2, s10
	s_and_saveexec_b32 s9, s8
; %bb.6:
	v_lshrrev_b32_e32 v2, 4, v0
	s_delay_alu instid0(VALU_DEP_1)
	v_and_b32_e32 v2, 60, v2
	ds_store_b32 v2, v1 offset:128
; %bb.7:
	s_or_b32 exec_lo, exec_lo, s9
	v_cmp_gt_u32_e64 s9, 16, v0
	v_and_b32_e32 v5, 15, v4
	v_or_b32_e32 v6, 32, v8
	s_wait_dscnt 0x0
	s_barrier_signal -1
	s_barrier_wait -1
	s_and_saveexec_b32 s35, s9
	s_cbranch_execz .LBB7_9
; %bb.8:
	ds_load_b32 v1, v8 offset:128
	v_cmp_ne_u32_e32 vcc_lo, 15, v5
	s_add_co_i32 s11, s36, 63
	v_add_nc_u32_e32 v13, 1, v5
	s_lshr_b32 s37, s11, 6
	v_cmp_gt_u32_e64 s11, 12, v5
	v_add_co_ci_u32_e64 v2, null, 0, v4, vcc_lo
	v_cmp_gt_u32_e32 vcc_lo, 14, v5
	s_delay_alu instid0(VALU_DEP_3) | instskip(NEXT) | instid1(VALU_DEP_3)
	v_cndmask_b32_e64 v14, 0, 4, s11
	v_lshlrev_b32_e32 v2, 2, v2
	v_cndmask_b32_e64 v3, 0, 2, vcc_lo
	v_cmp_gt_u32_e32 vcc_lo, s37, v13
	v_add_nc_u32_e32 v13, 2, v5
	s_delay_alu instid0(VALU_DEP_3)
	v_add_lshl_u32 v3, v3, v4, 2
	s_wait_dscnt 0x0
	ds_bpermute_b32 v2, v2, v1
	v_cmp_gt_u32_e64 s11, s37, v13
	s_wait_dscnt 0x0
	v_dual_add_f32 v2, v1, v2 :: v_dual_add_nc_u32 v13, 4, v5
	s_delay_alu instid0(VALU_DEP_1) | instskip(SKIP_3) | instid1(VALU_DEP_1)
	v_cndmask_b32_e32 v2, v1, v2, vcc_lo
	ds_bpermute_b32 v3, v3, v2
	s_wait_dscnt 0x0
	v_add_f32_e32 v3, v2, v3
	v_cndmask_b32_e64 v2, v2, v3, s11
	v_add_lshl_u32 v3, v14, v4, 2
	v_cmp_gt_u32_e64 s11, s37, v13
	v_add_nc_u32_e32 v13, 8, v5
	ds_bpermute_b32 v3, v3, v2
	s_wait_dscnt 0x0
	v_add_f32_e32 v3, v2, v3
	s_delay_alu instid0(VALU_DEP_1) | instskip(SKIP_4) | instid1(VALU_DEP_1)
	v_cndmask_b32_e64 v2, v2, v3, s11
	v_cmp_gt_u32_e64 s11, s37, v13
	ds_bpermute_b32 v3, v6, v2
	s_wait_dscnt 0x0
	v_add_f32_e32 v3, v2, v3
	v_cndmask_b32_e64 v2, v2, v3, s11
	s_delay_alu instid0(VALU_DEP_1)
	v_cndmask_b32_e32 v1, v1, v2, vcc_lo
.LBB7_9:
	s_or_b32 exec_lo, exec_lo, s35
	v_cmp_eq_u32_e64 s11, 0, v0
	s_and_saveexec_b32 s35, s11
	s_cbranch_execz .LBB7_11
; %bb.10:
	s_cvt_f32_i32 s37, s23
	s_delay_alu instid0(SALU_CYCLE_3) | instskip(SKIP_1) | instid1(VALU_DEP_2)
	v_div_scale_f32 v2, null, s37, s37, v1
	v_div_scale_f32 v14, vcc_lo, v1, s37, v1
	v_rcp_f32_e32 v3, v2
	v_nop
	s_delay_alu instid0(TRANS32_DEP_1) | instskip(NEXT) | instid1(VALU_DEP_1)
	v_fma_f32 v13, -v2, v3, 1.0
	v_fmac_f32_e32 v3, v13, v3
	s_delay_alu instid0(VALU_DEP_1) | instskip(NEXT) | instid1(VALU_DEP_1)
	v_mul_f32_e32 v13, v14, v3
	v_fma_f32 v15, -v2, v13, v14
	s_delay_alu instid0(VALU_DEP_1) | instskip(NEXT) | instid1(VALU_DEP_1)
	v_fmac_f32_e32 v13, v15, v3
	v_fma_f32 v2, -v2, v13, v14
	s_delay_alu instid0(VALU_DEP_1) | instskip(NEXT) | instid1(VALU_DEP_1)
	v_div_fmas_f32 v2, v2, v3, v13
	v_div_fixup_f32 v1, v2, s37, v1
	s_delay_alu instid0(VALU_DEP_1) | instskip(NEXT) | instid1(VALU_DEP_1)
	v_add_f32_e32 v1, s22, v1
	v_mul_f32_e32 v2, 0x4b800000, v1
	v_cmp_gt_f32_e32 vcc_lo, 0x800000, v1
	s_delay_alu instid0(VALU_DEP_2) | instskip(NEXT) | instid1(VALU_DEP_1)
	v_cndmask_b32_e32 v1, v1, v2, vcc_lo
	v_rsq_f32_e32 v1, v1
	v_nop
	s_delay_alu instid0(TRANS32_DEP_1) | instskip(NEXT) | instid1(VALU_DEP_1)
	v_mul_f32_e32 v2, 0x45800000, v1
	v_dual_cndmask_b32 v1, v1, v2 :: v_dual_mov_b32 v2, 0
	ds_store_b32 v2, v1 offset:264
.LBB7_11:
	s_or_b32 exec_lo, exec_lo, s35
	v_mov_b32_e32 v13, 0
	s_wait_dscnt 0x0
	s_barrier_signal -1
	s_barrier_wait -1
	ds_load_b32 v1, v13 offset:264
	s_and_saveexec_b32 s37, s2
	s_cbranch_execz .LBB7_15
; %bb.12:
	s_cmp_lt_u32 s28, s34
	s_mov_b32 s35, 0
	s_cselect_b32 s34, 12, 18
	v_dual_mov_b32 v3, 0 :: v_dual_mov_b32 v13, 0
	s_add_nc_u64 s[38:39], s[26:27], s[34:35]
	v_mov_b32_e32 v2, v0
	s_load_u16 s34, s[38:39], 0x0
.LBB7_13:                               ; =>This Inner Loop Header: Depth=1
	s_delay_alu instid0(VALU_DEP_1) | instskip(NEXT) | instid1(VALU_DEP_2)
	v_add_nc_u64_e32 v[14:15], s[24:25], v[2:3]
	v_max_num_f32_e32 v13, v13, v13
	s_delay_alu instid0(VALU_DEP_2) | instskip(NEXT) | instid1(VALU_DEP_1)
	v_lshlrev_b64_e32 v[14:15], 1, v[14:15]
	v_add_nc_u64_e32 v[16:17], s[16:17], v[14:15]
	v_add_nc_u64_e32 v[14:15], s[30:31], v[14:15]
	global_load_u16 v18, v[16:17], off
	global_load_u16 v19, v[14:15], off
	global_load_u16 v20, v2, s[18:19] scale_offset
	s_wait_kmcnt 0x0
	v_add_nc_u32_e32 v2, s34, v2
	s_delay_alu instid0(VALU_DEP_1)
	v_cmp_le_u32_e32 vcc_lo, s23, v2
	s_or_b32 s35, vcc_lo, s35
	s_wait_loadcnt 0x2
	v_cvt_f32_f16_e32 v14, v18
	s_wait_loadcnt 0x1
	v_cvt_f32_f16_e32 v15, v19
	s_delay_alu instid0(VALU_DEP_1) | instskip(SKIP_1) | instid1(VALU_DEP_1)
	v_add_f32_e32 v14, v14, v15
	s_wait_dscnt 0x0
	v_fma_mixlo_f16 v14, v1, v14, 0
	s_wait_loadcnt 0x0
	s_delay_alu instid0(VALU_DEP_1) | instskip(NEXT) | instid1(VALU_DEP_1)
	v_mul_f16_e32 v14, v20, v14
	v_cvt_f32_f16_e64 v14, |v14|
	s_delay_alu instid0(VALU_DEP_1)
	v_max_num_f32_e32 v13, v13, v14
	s_and_not1_b32 exec_lo, exec_lo, s35
	s_cbranch_execnz .LBB7_13
; %bb.14:
	s_or_b32 exec_lo, exec_lo, s35
.LBB7_15:
	s_delay_alu instid0(SALU_CYCLE_1)
	s_or_b32 exec_lo, exec_lo, s37
	ds_bpermute_b32 v3, v7, v13
	v_or_b32_e32 v2, 0x80, v8
	s_wait_dscnt 0x0
	v_cmp_lt_f32_e32 vcc_lo, v13, v3
	v_cndmask_b32_e32 v3, v13, v3, vcc_lo
	s_delay_alu instid0(VALU_DEP_1) | instskip(SKIP_1) | instid1(SALU_CYCLE_1)
	v_cndmask_b32_e64 v3, v13, v3, s3
	s_or_b32 s3, s3, s4
	s_or_b32 s3, s5, s3
	s_delay_alu instid0(SALU_CYCLE_1)
	s_or_b32 s3, s6, s3
	ds_bpermute_b32 v7, v9, v3
	s_or_b32 s3, s7, s3
	s_wait_dscnt 0x0
	v_cmp_lt_f32_e32 vcc_lo, v3, v7
	v_cndmask_b32_e32 v7, v3, v7, vcc_lo
	s_delay_alu instid0(VALU_DEP_1) | instskip(SKIP_4) | instid1(VALU_DEP_1)
	v_cndmask_b32_e64 v3, v3, v7, s4
	ds_bpermute_b32 v7, v10, v3
	s_wait_dscnt 0x0
	v_cmp_lt_f32_e32 vcc_lo, v3, v7
	v_cndmask_b32_e32 v7, v3, v7, vcc_lo
	v_cndmask_b32_e64 v3, v3, v7, s5
	ds_bpermute_b32 v7, v11, v3
	s_wait_dscnt 0x0
	v_cmp_lt_f32_e32 vcc_lo, v3, v7
	v_cndmask_b32_e32 v7, v3, v7, vcc_lo
	s_delay_alu instid0(VALU_DEP_1) | instskip(SKIP_4) | instid1(VALU_DEP_1)
	v_cndmask_b32_e64 v3, v3, v7, s6
	ds_bpermute_b32 v7, v12, v3
	s_wait_dscnt 0x0
	v_cmp_lt_f32_e32 vcc_lo, v3, v7
	v_cndmask_b32_e32 v7, v3, v7, vcc_lo
	v_cndmask_b32_e64 v3, v3, v7, s7
	ds_bpermute_b32 v2, v2, v3
	s_wait_dscnt 0x0
	v_cmp_lt_f32_e32 vcc_lo, v3, v2
	s_and_b32 vcc_lo, s10, vcc_lo
	v_cndmask_b32_e32 v2, v3, v2, vcc_lo
	s_or_b32 vcc_lo, s10, s3
	s_delay_alu instid0(VALU_DEP_1)
	v_cndmask_b32_e32 v2, v13, v2, vcc_lo
	s_and_saveexec_b32 s3, s8
; %bb.16:
	v_lshrrev_b32_e32 v3, 4, v0
	s_delay_alu instid0(VALU_DEP_1)
	v_and_b32_e32 v3, 60, v3
	ds_store_b32 v3, v2 offset:192
; %bb.17:
	s_or_b32 exec_lo, exec_lo, s3
	s_wait_dscnt 0x0
	s_barrier_signal -1
	s_barrier_wait -1
	s_and_saveexec_b32 s5, s9
	s_cbranch_execz .LBB7_19
; %bb.18:
	ds_load_b32 v2, v8 offset:192
	v_cmp_ne_u32_e32 vcc_lo, 15, v5
	s_add_co_i32 s3, s36, 63
	v_add_nc_u32_e32 v7, 1, v5
	s_lshr_b32 s4, s3, 6
	v_cmp_gt_u32_e64 s3, 12, v5
	v_add_co_ci_u32_e64 v3, null, 0, v4, vcc_lo
	v_cmp_gt_u32_e32 vcc_lo, 14, v5
	s_delay_alu instid0(VALU_DEP_3) | instskip(NEXT) | instid1(VALU_DEP_3)
	v_cndmask_b32_e64 v9, 0, 4, s3
	v_lshlrev_b32_e32 v3, 2, v3
	v_cndmask_b32_e64 v8, 0, 2, vcc_lo
	s_delay_alu instid0(VALU_DEP_1) | instskip(NEXT) | instid1(VALU_DEP_4)
	v_add_lshl_u32 v8, v8, v4, 2
	v_add_lshl_u32 v4, v9, v4, 2
	s_wait_dscnt 0x0
	ds_bpermute_b32 v3, v3, v2
	s_wait_dscnt 0x0
	v_cmp_lt_f32_e32 vcc_lo, v2, v3
	v_cndmask_b32_e32 v3, v2, v3, vcc_lo
	v_cmp_gt_u32_e32 vcc_lo, s4, v7
	s_delay_alu instid0(VALU_DEP_2) | instskip(SKIP_4) | instid1(VALU_DEP_1)
	v_cndmask_b32_e32 v3, v2, v3, vcc_lo
	ds_bpermute_b32 v7, v8, v3
	v_add_nc_u32_e32 v8, 2, v5
	s_wait_dscnt 0x0
	v_cmp_lt_f32_e64 s3, v3, v7
	v_cndmask_b32_e64 v7, v3, v7, s3
	s_delay_alu instid0(VALU_DEP_3) | instskip(NEXT) | instid1(VALU_DEP_1)
	v_cmp_gt_u32_e64 s3, s4, v8
	v_dual_cndmask_b32 v3, v3, v7, s3 :: v_dual_add_nc_u32 v7, 4, v5
	v_add_nc_u32_e32 v5, 8, v5
	ds_bpermute_b32 v4, v4, v3
	s_wait_dscnt 0x0
	v_cmp_lt_f32_e64 s3, v3, v4
	s_delay_alu instid0(VALU_DEP_1) | instskip(SKIP_1) | instid1(VALU_DEP_1)
	v_cndmask_b32_e64 v4, v3, v4, s3
	v_cmp_gt_u32_e64 s3, s4, v7
	v_cndmask_b32_e64 v3, v3, v4, s3
	v_cmp_gt_u32_e64 s3, s4, v5
	ds_bpermute_b32 v4, v6, v3
	s_wait_dscnt 0x0
	v_cmp_lt_f32_e64 s4, v3, v4
	s_and_b32 s3, s3, s4
	s_delay_alu instid0(SALU_CYCLE_1) | instskip(NEXT) | instid1(VALU_DEP_1)
	v_cndmask_b32_e64 v3, v3, v4, s3
	v_cndmask_b32_e32 v2, v2, v3, vcc_lo
.LBB7_19:
	s_or_b32 exec_lo, exec_lo, s5
	s_and_saveexec_b32 s3, s11
	s_cbranch_execz .LBB7_23
; %bb.20:
	s_cmp_eq_u64 s[20:21], 0
	s_cbranch_scc1 .LBB7_22
; %bb.21:
	s_load_b32 s4, s[20:21], 0x0
	v_max_num_f32_e32 v2, v2, v2
	s_wait_kmcnt 0x0
	v_max_num_f32_e64 v3, s4, s4
	s_delay_alu instid0(VALU_DEP_1)
	v_min_num_f32_e32 v2, v2, v3
.LBB7_22:
	s_delay_alu instid0(VALU_DEP_1)
	v_div_scale_f32 v3, null, 0x43600000, 0x43600000, v2
	v_div_scale_f32 v6, vcc_lo, v2, 0x43600000, v2
	s_lshl_b64 s[4:5], s[28:29], 2
	v_rcp_f32_e32 v4, v3
	s_add_nc_u64 s[4:5], s[14:15], s[4:5]
	v_nop
	s_delay_alu instid0(TRANS32_DEP_1) | instskip(NEXT) | instid1(VALU_DEP_1)
	v_fma_f32 v5, -v3, v4, 1.0
	v_fmac_f32_e32 v4, v5, v4
	s_delay_alu instid0(VALU_DEP_1) | instskip(NEXT) | instid1(VALU_DEP_1)
	v_mul_f32_e32 v5, v6, v4
	v_fma_f32 v7, -v3, v5, v6
	s_delay_alu instid0(VALU_DEP_1) | instskip(NEXT) | instid1(VALU_DEP_1)
	v_fmac_f32_e32 v5, v7, v4
	v_fma_f32 v3, -v3, v5, v6
	s_delay_alu instid0(VALU_DEP_1) | instskip(NEXT) | instid1(VALU_DEP_1)
	v_div_fmas_f32 v3, v3, v4, v5
	v_div_fixup_f32 v2, v3, 0x43600000, v2
	s_delay_alu instid0(VALU_DEP_1)
	v_dual_mov_b32 v3, 0 :: v_dual_max_num_f32 v2, 0x37124925, v2
	ds_store_b32 v3, v2 offset:268
	global_store_b32 v3, v2, s[4:5]
.LBB7_23:
	s_wait_xcnt 0x0
	s_or_b32 exec_lo, exec_lo, s3
	s_wait_storecnt_dscnt 0x0
	s_barrier_signal -1
	s_barrier_wait -1
	s_and_saveexec_b32 s3, s2
	s_cbranch_execz .LBB7_34
; %bb.24:
	v_dual_mov_b32 v3, 0 :: v_dual_mov_b32 v2, v0
	s_mov_b32 s2, 0
	s_mov_b32 s4, 0x43600000
	ds_load_b32 v6, v3 offset:268
	s_branch .LBB7_27
.LBB7_25:                               ;   in Loop: Header=BB7_27 Depth=1
	s_or_b32 exec_lo, exec_lo, s7
.LBB7_26:                               ;   in Loop: Header=BB7_27 Depth=1
	s_delay_alu instid0(SALU_CYCLE_1) | instskip(SKIP_2) | instid1(VALU_DEP_2)
	s_or_b32 exec_lo, exec_lo, s5
	v_add_nc_u32_e32 v2, s36, v2
	v_add_nc_u64_e32 v[4:5], s[12:13], v[4:5]
	v_cmp_le_u32_e32 vcc_lo, s23, v2
	global_store_b8 v[4:5], v9, off
	s_or_b32 s2, vcc_lo, s2
	s_wait_xcnt 0x0
	s_and_not1_b32 exec_lo, exec_lo, s2
	s_cbranch_execz .LBB7_34
.LBB7_27:                               ; =>This Inner Loop Header: Depth=1
	v_add_nc_u64_e32 v[4:5], s[24:25], v[2:3]
	s_mov_b32 s5, exec_lo
	s_delay_alu instid0(VALU_DEP_1) | instskip(NEXT) | instid1(VALU_DEP_1)
	v_lshlrev_b64_e32 v[8:9], 1, v[4:5]
	v_add_nc_u64_e32 v[10:11], s[16:17], v[8:9]
	v_add_nc_u64_e32 v[12:13], s[30:31], v[8:9]
	global_load_u16 v7, v[10:11], off
	global_load_u16 v8, v[12:13], off
	global_load_u16 v9, v2, s[18:19] scale_offset
	s_wait_loadcnt 0x2
	v_cvt_f32_f16_e32 v7, v7
	s_wait_loadcnt 0x1
	v_cvt_f32_f16_e32 v8, v8
	s_wait_xcnt 0x2
	s_delay_alu instid0(VALU_DEP_1) | instskip(NEXT) | instid1(VALU_DEP_1)
	v_add_f32_e32 v10, v7, v8
	v_fma_mixlo_f16 v7, v1, v10, 0
	s_wait_loadcnt 0x0
	s_delay_alu instid0(VALU_DEP_1) | instskip(NEXT) | instid1(VALU_DEP_1)
	v_mul_f16_e32 v7, v9, v7
	v_cvt_f32_f16_e32 v7, v7
	s_wait_dscnt 0x0
	s_delay_alu instid0(VALU_DEP_1) | instskip(SKIP_1) | instid1(VALU_DEP_2)
	v_div_scale_f32 v8, null, v6, v6, v7
	v_div_scale_f32 v14, vcc_lo, v7, v6, v7
	v_rcp_f32_e32 v9, v8
	v_nop
	s_delay_alu instid0(TRANS32_DEP_1) | instskip(NEXT) | instid1(VALU_DEP_1)
	v_fma_f32 v11, -v8, v9, 1.0
	v_fmac_f32_e32 v9, v11, v9
	s_delay_alu instid0(VALU_DEP_1) | instskip(SKIP_1) | instid1(VALU_DEP_2)
	v_mul_f32_e32 v11, v14, v9
	v_cvt_f16_f32_e32 v10, v10
	v_fma_f32 v15, -v8, v11, v14
	global_store_b16 v[12:13], v10, off
	v_fmac_f32_e32 v11, v15, v9
	s_delay_alu instid0(VALU_DEP_1) | instskip(NEXT) | instid1(VALU_DEP_1)
	v_fma_f32 v8, -v8, v11, v14
	v_div_fmas_f32 v8, v8, v9, v11
	v_mov_b32_e32 v9, 0x80
	s_delay_alu instid0(VALU_DEP_2) | instskip(NEXT) | instid1(VALU_DEP_1)
	v_div_fixup_f32 v7, v8, v6, v7
	v_minmax_num_f32 v7, v7, s4, 0xc3600000
	s_delay_alu instid0(VALU_DEP_1) | instskip(SKIP_1) | instid1(VALU_DEP_1)
	v_and_b32_e32 v8, 0x7fffffff, v7
	s_wait_xcnt 0x0
	v_cmpx_gt_u32_e32 0x43800000, v8
	s_cbranch_execz .LBB7_26
; %bb.28:                               ;   in Loop: Header=BB7_27 Depth=1
	v_cmp_lt_u32_e32 vcc_lo, 0x3bffffff, v8
	s_mov_b32 s6, 0
                                        ; implicit-def: $vgpr8
	s_and_saveexec_b32 s7, vcc_lo
	s_delay_alu instid0(SALU_CYCLE_1)
	s_xor_b32 s7, exec_lo, s7
	s_cbranch_execnz .LBB7_31
; %bb.29:                               ;   in Loop: Header=BB7_27 Depth=1
	s_and_not1_saveexec_b32 s7, s7
	s_cbranch_execnz .LBB7_32
.LBB7_30:                               ;   in Loop: Header=BB7_27 Depth=1
	s_or_b32 exec_lo, exec_lo, s7
	v_mov_b32_e32 v9, 0
	s_and_saveexec_b32 s7, s6
	s_cbranch_execz .LBB7_25
	s_branch .LBB7_33
.LBB7_31:                               ;   in Loop: Header=BB7_27 Depth=1
	v_bfe_u32 v8, v7, 20, 1
	s_mov_b32 s6, exec_lo
	s_delay_alu instid0(VALU_DEP_1) | instskip(NEXT) | instid1(VALU_DEP_1)
	v_add3_u32 v8, v7, v8, 0x487ffff
	v_lshrrev_b32_e32 v8, 20, v8
	s_and_not1_saveexec_b32 s7, s7
	s_cbranch_execz .LBB7_30
.LBB7_32:                               ;   in Loop: Header=BB7_27 Depth=1
	v_add_f32_e64 v8, 0x46000000, |v7|
	s_and_not1_b32 s6, s6, exec_lo
	s_delay_alu instid0(VALU_DEP_1) | instskip(NEXT) | instid1(VALU_DEP_1)
	v_and_b32_e32 v8, 0xff, v8
	v_cmp_ne_u32_e32 vcc_lo, 0, v8
	s_and_b32 s8, vcc_lo, exec_lo
	s_delay_alu instid0(SALU_CYCLE_1)
	s_or_b32 s6, s6, s8
	s_or_b32 exec_lo, exec_lo, s7
	v_mov_b32_e32 v9, 0
	s_and_saveexec_b32 s7, s6
	s_cbranch_execz .LBB7_25
.LBB7_33:                               ;   in Loop: Header=BB7_27 Depth=1
	v_lshrrev_b32_e32 v7, 24, v7
	s_delay_alu instid0(VALU_DEP_1)
	v_and_or_b32 v9, 0x80, v7, v8
	s_branch .LBB7_25
.LBB7_34:
	s_or_b32 exec_lo, exec_lo, s3
	s_branch .LBB7_207
.LBB7_35:
	s_cbranch_execz .LBB7_207
; %bb.36:
	s_load_b32 s1, s[0:1], 0x38
	s_bfe_u32 s2, ttmp6, 0x4000c
	s_wait_xcnt 0x0
	s_and_b32 s0, ttmp6, 15
	s_add_co_i32 s2, s2, 1
	s_mov_b32 s29, 0
	s_mul_i32 s2, ttmp9, s2
	v_mov_b32_e32 v2, 0
	s_add_co_i32 s0, s0, s2
	s_cmp_eq_u32 s33, 0
	s_mov_b32 s2, s23
	s_cselect_b32 s28, ttmp9, s0
	s_ashr_i32 s3, s23, 31
	s_ashr_i32 s33, s23, 2
	s_mul_u64 s[24:25], s[2:3], s[28:29]
	v_cmp_gt_u32_e64 s0, s33, v0
	s_lshl_b64 s[2:3], s[24:25], 1
	s_delay_alu instid0(SALU_CYCLE_1)
	s_add_nc_u64 s[10:11], s[16:17], s[2:3]
	s_add_nc_u64 s[16:17], s[30:31], s[2:3]
	s_and_saveexec_b32 s2, s0
	s_cbranch_execz .LBB7_46
; %bb.37:
	s_wait_kmcnt 0x0
	s_cmp_lt_u32 s28, s1
	s_mov_b32 s5, s29
	s_cselect_b32 s4, 12, 18
	v_dual_mov_b32 v2, 0 :: v_dual_mov_b32 v1, v0
	s_add_nc_u64 s[4:5], s[26:27], s[4:5]
	s_mov_b32 s6, s29
	s_load_u16 s3, s[4:5], 0x0
                                        ; implicit-def: $sgpr8
	s_wait_kmcnt 0x0
	s_lshl_b32 s4, s3, 1
	s_mul_i32 s5, s3, 3
	s_add_co_i32 s7, s3, s3
	s_branch .LBB7_41
.LBB7_38:                               ;   in Loop: Header=BB7_41 Depth=1
	s_or_b32 exec_lo, exec_lo, s31
	s_delay_alu instid0(SALU_CYCLE_1)
	s_or_not1_b32 s31, s34, exec_lo
.LBB7_39:                               ;   in Loop: Header=BB7_41 Depth=1
	s_or_b32 exec_lo, exec_lo, s30
	s_delay_alu instid0(SALU_CYCLE_1) | instskip(SKIP_1) | instid1(SALU_CYCLE_1)
	s_and_not1_b32 s8, s8, exec_lo
	s_and_b32 s30, s31, exec_lo
	s_or_b32 s8, s8, s30
.LBB7_40:                               ;   in Loop: Header=BB7_41 Depth=1
	s_or_b32 exec_lo, exec_lo, s9
	s_delay_alu instid0(SALU_CYCLE_1) | instskip(NEXT) | instid1(SALU_CYCLE_1)
	s_and_b32 s9, exec_lo, s8
	s_or_b32 s6, s9, s6
	s_delay_alu instid0(SALU_CYCLE_1)
	s_and_not1_b32 exec_lo, exec_lo, s6
	s_cbranch_execz .LBB7_45
.LBB7_41:                               ; =>This Inner Loop Header: Depth=1
	s_clause 0x1
	global_load_b64 v[4:5], v1, s[10:11] scale_offset
	global_load_b64 v[6:7], v1, s[16:17] scale_offset
	s_or_b32 s8, s8, exec_lo
	s_mov_b32 s9, exec_lo
	s_wait_loadcnt 0x0
	v_dual_lshrrev_b32 v3, 16, v4 :: v_dual_lshrrev_b32 v11, 16, v6
	v_cvt_f32_f16_e32 v8, v4
	v_cvt_f32_f16_e32 v10, v6
	;; [unrolled: 1-line block ×3, first 2 shown]
	s_delay_alu instid0(VALU_DEP_4) | instskip(SKIP_3) | instid1(VALU_DEP_3)
	v_cvt_f32_f16_e32 v9, v3
	v_cvt_f32_f16_e32 v11, v11
	v_dual_lshrrev_b32 v3, 16, v5 :: v_dual_lshrrev_b32 v12, 16, v7
	v_cvt_f32_f16_e32 v6, v7
	v_pk_add_f32 v[8:9], v[8:9], v[10:11]
	s_delay_alu instid0(VALU_DEP_3) | instskip(NEXT) | instid1(VALU_DEP_4)
	v_cvt_f32_f16_e32 v5, v3
	v_cvt_f32_f16_e32 v7, v12
	v_add_nc_u32_e32 v3, s3, v1
	s_delay_alu instid0(VALU_DEP_4) | instskip(NEXT) | instid1(VALU_DEP_3)
	v_pk_mul_f32 v[8:9], v[8:9], v[8:9]
	v_pk_add_f32 v[4:5], v[4:5], v[6:7]
	s_delay_alu instid0(VALU_DEP_2) | instskip(NEXT) | instid1(VALU_DEP_2)
	v_add_f32_e32 v2, v2, v8
	v_pk_mul_f32 v[4:5], v[4:5], v[4:5]
	s_delay_alu instid0(VALU_DEP_2) | instskip(NEXT) | instid1(VALU_DEP_1)
	v_add_f32_e32 v2, v2, v9
	v_add_f32_e32 v2, v2, v4
	s_delay_alu instid0(VALU_DEP_1)
	v_add_f32_e32 v2, v2, v5
	s_wait_xcnt 0x0
	v_cmpx_gt_u32_e64 s33, v3
	s_cbranch_execz .LBB7_40
; %bb.42:                               ;   in Loop: Header=BB7_41 Depth=1
	s_clause 0x1
	global_load_b64 v[4:5], v3, s[10:11] scale_offset
	global_load_b64 v[6:7], v3, s[16:17] scale_offset
	s_mov_b32 s31, -1
	s_mov_b32 s30, exec_lo
	s_wait_loadcnt 0x0
	v_dual_lshrrev_b32 v9, 16, v4 :: v_dual_lshrrev_b32 v11, 16, v6
	v_cvt_f32_f16_e32 v8, v4
	v_cvt_f32_f16_e32 v10, v6
	v_dual_lshrrev_b32 v12, 16, v5 :: v_dual_lshrrev_b32 v13, 16, v7
	s_delay_alu instid0(VALU_DEP_4)
	v_cvt_f32_f16_e32 v9, v9
	v_cvt_f32_f16_e32 v11, v11
	;; [unrolled: 1-line block ×6, first 2 shown]
	v_pk_add_f32 v[8:9], v[8:9], v[10:11]
	s_delay_alu instid0(VALU_DEP_2) | instskip(NEXT) | instid1(VALU_DEP_2)
	v_pk_add_f32 v[4:5], v[4:5], v[6:7]
	v_pk_mul_f32 v[8:9], v[8:9], v[8:9]
	s_delay_alu instid0(VALU_DEP_2) | instskip(NEXT) | instid1(VALU_DEP_2)
	v_pk_mul_f32 v[4:5], v[4:5], v[4:5]
	v_add_f32_e32 v2, v2, v8
	s_delay_alu instid0(VALU_DEP_1) | instskip(NEXT) | instid1(VALU_DEP_1)
	v_add_f32_e32 v2, v2, v9
	v_dual_add_f32 v2, v2, v4 :: v_dual_add_nc_u32 v4, s4, v1
	s_delay_alu instid0(VALU_DEP_1) | instskip(SKIP_1) | instid1(VALU_DEP_2)
	v_add_f32_e32 v2, v2, v5
	s_wait_xcnt 0x0
	v_cmpx_gt_u32_e64 s33, v4
	s_cbranch_execz .LBB7_39
; %bb.43:                               ;   in Loop: Header=BB7_41 Depth=1
	s_clause 0x1
	global_load_b64 v[6:7], v4, s[10:11] scale_offset
	global_load_b64 v[8:9], v4, s[16:17] scale_offset
	s_mov_b32 s34, -1
	s_mov_b32 s31, exec_lo
	s_wait_loadcnt 0x0
	v_dual_lshrrev_b32 v5, 16, v6 :: v_dual_lshrrev_b32 v11, 16, v8
	s_wait_xcnt 0x0
	v_cvt_f32_f16_e32 v4, v6
	v_cvt_f32_f16_e32 v10, v8
	v_dual_lshrrev_b32 v12, 16, v7 :: v_dual_lshrrev_b32 v13, 16, v9
	v_cvt_f32_f16_e32 v5, v5
	v_cvt_f32_f16_e32 v11, v11
	;; [unrolled: 1-line block ×6, first 2 shown]
	v_pk_add_f32 v[4:5], v[4:5], v[10:11]
	s_delay_alu instid0(VALU_DEP_2) | instskip(NEXT) | instid1(VALU_DEP_2)
	v_pk_add_f32 v[6:7], v[6:7], v[8:9]
	v_pk_mul_f32 v[4:5], v[4:5], v[4:5]
	s_delay_alu instid0(VALU_DEP_2) | instskip(NEXT) | instid1(VALU_DEP_2)
	v_pk_mul_f32 v[6:7], v[6:7], v[6:7]
	v_dual_add_f32 v2, v2, v4 :: v_dual_add_nc_u32 v4, s5, v1
                                        ; implicit-def: $vgpr1
	s_delay_alu instid0(VALU_DEP_1) | instskip(NEXT) | instid1(VALU_DEP_1)
	v_add_f32_e32 v2, v2, v5
	v_add_f32_e32 v2, v2, v6
	s_delay_alu instid0(VALU_DEP_1) | instskip(NEXT) | instid1(VALU_DEP_4)
	v_add_f32_e32 v2, v2, v7
	v_cmpx_gt_u32_e64 s33, v4
	s_xor_b32 s31, exec_lo, s31
	s_cbranch_execz .LBB7_38
; %bb.44:                               ;   in Loop: Header=BB7_41 Depth=1
	s_clause 0x1
	global_load_b64 v[6:7], v4, s[10:11] scale_offset
	global_load_b64 v[8:9], v4, s[16:17] scale_offset
	s_wait_loadcnt 0x0
	v_dual_lshrrev_b32 v1, 16, v6 :: v_dual_lshrrev_b32 v11, 16, v8
	s_wait_xcnt 0x0
	v_cvt_f32_f16_e32 v4, v6
	v_cvt_f32_f16_e32 v10, v8
	;; [unrolled: 1-line block ×5, first 2 shown]
	v_lshrrev_b32_e32 v1, 16, v7
	v_cvt_f32_f16_e32 v8, v9
	s_delay_alu instid0(VALU_DEP_3) | instskip(SKIP_1) | instid1(VALU_DEP_4)
	v_pk_add_f32 v[4:5], v[4:5], v[10:11]
	v_lshrrev_b32_e32 v10, 16, v9
	v_cvt_f32_f16_e32 v7, v1
	s_delay_alu instid0(VALU_DEP_3) | instskip(NEXT) | instid1(VALU_DEP_3)
	v_pk_mul_f32 v[4:5], v[4:5], v[4:5]
	v_cvt_f32_f16_e32 v9, v10
	s_delay_alu instid0(VALU_DEP_2) | instskip(NEXT) | instid1(VALU_DEP_2)
	v_add_f32_e32 v1, v2, v4
	v_pk_add_f32 v[6:7], v[6:7], v[8:9]
	s_delay_alu instid0(VALU_DEP_2) | instskip(NEXT) | instid1(VALU_DEP_2)
	v_add_f32_e32 v2, v1, v5
	v_pk_mul_f32 v[4:5], v[6:7], v[6:7]
	v_add3_u32 v1, s7, s3, v3
	s_delay_alu instid0(VALU_DEP_2) | instskip(NEXT) | instid1(VALU_DEP_2)
	v_add_f32_e32 v2, v2, v4
	v_cmp_le_u32_e32 vcc_lo, s33, v1
	s_delay_alu instid0(VALU_DEP_2)
	v_add_f32_e32 v2, v2, v5
	s_or_not1_b32 s34, vcc_lo, exec_lo
	s_branch .LBB7_38
.LBB7_45:
	s_or_b32 exec_lo, exec_lo, s6
.LBB7_46:
	s_delay_alu instid0(SALU_CYCLE_1)
	s_or_b32 exec_lo, exec_lo, s2
	v_mbcnt_lo_u32_b32 v1, -1, 0
	s_wait_kmcnt 0x0
	s_cmp_lt_u32 s28, s1
	s_mov_b32 s3, 0
	s_cselect_b32 s2, 12, 18
	v_and_b32_e32 v5, 0x3c0, v0
	v_cmp_ne_u32_e32 vcc_lo, 63, v1
	s_add_nc_u64 s[2:3], s[26:27], s[2:3]
	v_cmp_eq_u32_e64 s6, 0, v1
	s_load_u16 s26, s[2:3], 0x0
	v_add_nc_u32_e32 v6, 1, v1
	v_add_co_ci_u32_e64 v3, null, 0, v1, vcc_lo
	v_cmp_gt_u32_e32 vcc_lo, 62, v1
	s_delay_alu instid0(VALU_DEP_2)
	v_lshlrev_b32_e32 v3, 2, v3
	v_cndmask_b32_e64 v7, 0, 2, vcc_lo
	v_cmp_gt_u32_e32 vcc_lo, 60, v1
	ds_bpermute_b32 v4, v3, v2
	s_wait_kmcnt 0x0
	v_sub_nc_u32_e64 v8, s26, v5 clamp
	s_delay_alu instid0(VALU_DEP_1)
	v_cmp_lt_u32_e64 s1, v6, v8
	v_cndmask_b32_e64 v6, 0, 4, vcc_lo
	v_cmp_gt_u32_e32 vcc_lo, 56, v1
	s_wait_dscnt 0x0
	v_add_f32_e32 v5, v2, v4
	v_add_lshl_u32 v4, v7, v1, 2
	v_add_nc_u32_e32 v7, 2, v1
	s_delay_alu instid0(VALU_DEP_3) | instskip(NEXT) | instid1(VALU_DEP_2)
	v_cndmask_b32_e64 v2, v2, v5, s1
	v_cmp_lt_u32_e64 s2, v7, v8
	v_cndmask_b32_e64 v7, 0, 8, vcc_lo
	v_cmp_gt_u32_e32 vcc_lo, 48, v1
	ds_bpermute_b32 v5, v4, v2
	s_wait_dscnt 0x0
	v_add_f32_e32 v9, v2, v5
	v_add_lshl_u32 v5, v6, v1, 2
	s_delay_alu instid0(VALU_DEP_2) | instskip(SKIP_4) | instid1(VALU_DEP_2)
	v_cndmask_b32_e64 v2, v2, v9, s2
	ds_bpermute_b32 v6, v5, v2
	s_wait_dscnt 0x0
	v_dual_add_f32 v10, v2, v6 :: v_dual_add_nc_u32 v9, 4, v1
	v_add_lshl_u32 v6, v7, v1, 2
	v_cmp_lt_u32_e64 s3, v9, v8
	v_cndmask_b32_e64 v9, 0, 16, vcc_lo
	s_delay_alu instid0(VALU_DEP_2) | instskip(SKIP_3) | instid1(VALU_DEP_1)
	v_cndmask_b32_e64 v2, v2, v10, s3
	ds_bpermute_b32 v7, v6, v2
	s_wait_dscnt 0x0
	v_dual_add_f32 v11, v2, v7 :: v_dual_add_nc_u32 v10, 8, v1
	v_cmp_lt_u32_e64 s4, v10, v8
	v_add_lshl_u32 v7, v9, v1, 2
	s_delay_alu instid0(VALU_DEP_2) | instskip(NEXT) | instid1(VALU_DEP_1)
	v_dual_add_nc_u32 v10, 16, v1 :: v_dual_cndmask_b32 v9, v2, v11, s4
	v_cmp_lt_u32_e64 s5, v10, v8
	ds_bpermute_b32 v2, v7, v9
	s_wait_dscnt 0x0
	v_dual_add_f32 v11, v9, v2 :: v_dual_lshlrev_b32 v2, 2, v1
	s_delay_alu instid0(VALU_DEP_1) | instskip(SKIP_3) | instid1(VALU_DEP_1)
	v_cndmask_b32_e64 v9, v9, v11, s5
	ds_bpermute_b32 v10, v2, v9 offset:128
	s_wait_dscnt 0x0
	v_dual_add_f32 v10, v9, v10 :: v_dual_bitop2_b32 v11, 32, v1 bitop3:0x54
	v_cmp_lt_u32_e64 s8, v11, v8
	s_delay_alu instid0(VALU_DEP_1)
	v_cndmask_b32_e64 v8, v9, v10, s8
	s_and_saveexec_b32 s7, s6
; %bb.47:
	v_lshrrev_b32_e32 v9, 4, v0
	s_delay_alu instid0(VALU_DEP_1)
	v_and_b32_e32 v9, 60, v9
	ds_store_b32 v9, v8
; %bb.48:
	s_or_b32 exec_lo, exec_lo, s7
	v_cmp_gt_u32_e64 s7, 16, v0
	s_wait_storecnt_dscnt 0x0
	s_barrier_signal -1
	s_barrier_wait -1
	s_and_saveexec_b32 s27, s7
	s_cbranch_execz .LBB7_50
; %bb.49:
	ds_load_b32 v8, v2
	v_and_b32_e32 v9, 15, v1
	s_add_co_i32 s9, s26, 63
	s_delay_alu instid0(SALU_CYCLE_1) | instskip(NEXT) | instid1(VALU_DEP_1)
	s_lshr_b32 s30, s9, 6
	v_cmp_ne_u32_e32 vcc_lo, 15, v9
	v_add_co_ci_u32_e64 v10, null, 0, v1, vcc_lo
	s_delay_alu instid0(VALU_DEP_1)
	v_lshlrev_b32_e32 v10, 2, v10
	v_cmp_gt_u32_e32 vcc_lo, 14, v9
	v_cmp_gt_u32_e64 s9, 12, v9
	v_add_nc_u32_e32 v13, 2, v9
	s_wait_dscnt 0x0
	ds_bpermute_b32 v10, v10, v8
	v_add_nc_u32_e32 v12, 1, v9
	v_cndmask_b32_e64 v11, 0, 2, vcc_lo
	s_delay_alu instid0(VALU_DEP_1)
	v_add_lshl_u32 v11, v11, v1, 2
	s_wait_dscnt 0x0
	v_add_f32_e32 v10, v8, v10
	v_cmp_gt_u32_e32 vcc_lo, s30, v12
	v_cndmask_b32_e64 v12, 0, 4, s9
	v_cmp_gt_u32_e64 s9, s30, v13
	s_delay_alu instid0(VALU_DEP_4) | instskip(NEXT) | instid1(VALU_DEP_3)
	v_cndmask_b32_e32 v10, v8, v10, vcc_lo
	v_add_lshl_u32 v12, v12, v1, 2
	ds_bpermute_b32 v11, v11, v10
	s_wait_dscnt 0x0
	v_add_f32_e32 v11, v10, v11
	s_delay_alu instid0(VALU_DEP_1) | instskip(SKIP_2) | instid1(VALU_DEP_1)
	v_cndmask_b32_e64 v10, v10, v11, s9
	ds_bpermute_b32 v11, v12, v10
	v_dual_add_nc_u32 v12, 4, v9 :: v_dual_add_nc_u32 v9, 8, v9
	v_cmp_gt_u32_e64 s9, s30, v12
	s_wait_dscnt 0x0
	v_add_f32_e32 v11, v10, v11
	s_delay_alu instid0(VALU_DEP_1) | instskip(SKIP_4) | instid1(VALU_DEP_1)
	v_dual_cndmask_b32 v10, v10, v11, s9 :: v_dual_bitop2_b32 v11, 32, v2 bitop3:0x54
	v_cmp_gt_u32_e64 s9, s30, v9
	ds_bpermute_b32 v11, v11, v10
	s_wait_dscnt 0x0
	v_add_f32_e32 v11, v10, v11
	v_cndmask_b32_e64 v9, v10, v11, s9
	s_delay_alu instid0(VALU_DEP_1)
	v_cndmask_b32_e32 v8, v8, v9, vcc_lo
.LBB7_50:
	s_or_b32 exec_lo, exec_lo, s27
	v_cmp_eq_u32_e64 s9, 0, v0
	s_and_saveexec_b32 s27, s9
	s_cbranch_execz .LBB7_52
; %bb.51:
	s_cvt_f32_i32 s23, s23
	s_delay_alu instid0(SALU_CYCLE_3) | instskip(SKIP_1) | instid1(VALU_DEP_2)
	v_div_scale_f32 v9, null, s23, s23, v8
	v_div_scale_f32 v12, vcc_lo, v8, s23, v8
	v_rcp_f32_e32 v10, v9
	v_nop
	s_delay_alu instid0(TRANS32_DEP_1) | instskip(NEXT) | instid1(VALU_DEP_1)
	v_fma_f32 v11, -v9, v10, 1.0
	v_fmac_f32_e32 v10, v11, v10
	s_delay_alu instid0(VALU_DEP_1) | instskip(NEXT) | instid1(VALU_DEP_1)
	v_mul_f32_e32 v11, v12, v10
	v_fma_f32 v13, -v9, v11, v12
	s_delay_alu instid0(VALU_DEP_1) | instskip(NEXT) | instid1(VALU_DEP_1)
	v_fmac_f32_e32 v11, v13, v10
	v_fma_f32 v9, -v9, v11, v12
	s_delay_alu instid0(VALU_DEP_1) | instskip(NEXT) | instid1(VALU_DEP_1)
	v_div_fmas_f32 v9, v9, v10, v11
	v_div_fixup_f32 v8, v9, s23, v8
	s_delay_alu instid0(VALU_DEP_1) | instskip(NEXT) | instid1(VALU_DEP_1)
	v_add_f32_e32 v8, s22, v8
	v_mul_f32_e32 v9, 0x4b800000, v8
	v_cmp_gt_f32_e32 vcc_lo, 0x800000, v8
	s_delay_alu instid0(VALU_DEP_2) | instskip(NEXT) | instid1(VALU_DEP_1)
	v_cndmask_b32_e32 v8, v8, v9, vcc_lo
	v_rsq_f32_e32 v8, v8
	v_nop
	s_delay_alu instid0(TRANS32_DEP_1) | instskip(NEXT) | instid1(VALU_DEP_1)
	v_mul_f32_e32 v9, 0x45800000, v8
	v_dual_cndmask_b32 v8, v8, v9 :: v_dual_mov_b32 v9, 0
	ds_store_b32 v9, v8 offset:256
.LBB7_52:
	s_or_b32 exec_lo, exec_lo, s27
	v_mov_b32_e32 v8, 0
	s_wait_dscnt 0x0
	s_barrier_signal -1
	s_barrier_wait -1
	ds_load_b32 v12, v8 offset:256
	s_and_saveexec_b32 s22, s0
	s_cbranch_execz .LBB7_62
; %bb.53:
	v_dual_mov_b32 v8, 0 :: v_dual_mov_b32 v9, v0
	s_lshl_b32 s23, s26, 1
	s_mul_i32 s30, s26, 3
	s_mov_b32 s27, 0
	s_add_co_i32 s31, s26, s26
                                        ; implicit-def: $sgpr34
	s_branch .LBB7_57
.LBB7_54:                               ;   in Loop: Header=BB7_57 Depth=1
	s_or_b32 exec_lo, exec_lo, s37
	s_delay_alu instid0(SALU_CYCLE_1)
	s_or_not1_b32 s37, s38, exec_lo
.LBB7_55:                               ;   in Loop: Header=BB7_57 Depth=1
	s_or_b32 exec_lo, exec_lo, s36
	s_delay_alu instid0(SALU_CYCLE_1) | instskip(SKIP_1) | instid1(SALU_CYCLE_1)
	s_and_not1_b32 s34, s34, exec_lo
	s_and_b32 s36, s37, exec_lo
	s_or_b32 s34, s34, s36
.LBB7_56:                               ;   in Loop: Header=BB7_57 Depth=1
	s_or_b32 exec_lo, exec_lo, s35
	s_delay_alu instid0(SALU_CYCLE_1) | instskip(NEXT) | instid1(SALU_CYCLE_1)
	s_and_b32 s35, exec_lo, s34
	s_or_b32 s27, s35, s27
	s_delay_alu instid0(SALU_CYCLE_1)
	s_and_not1_b32 exec_lo, exec_lo, s27
	s_cbranch_execz .LBB7_61
.LBB7_57:                               ; =>This Inner Loop Header: Depth=1
	s_clause 0x2
	global_load_b64 v[10:11], v9, s[10:11] scale_offset
	global_load_b64 v[14:15], v9, s[16:17] scale_offset
	;; [unrolled: 1-line block ×3, first 2 shown]
	s_or_b32 s34, s34, exec_lo
	s_mov_b32 s35, exec_lo
	s_wait_loadcnt 0x2
	v_dual_lshrrev_b32 v13, 16, v10 :: v_dual_lshrrev_b32 v18, 16, v11
	s_wait_loadcnt 0x1
	v_dual_lshrrev_b32 v19, 16, v14 :: v_dual_lshrrev_b32 v20, 16, v15
	v_cvt_f32_f16_e32 v10, v10
	v_cvt_f32_f16_e32 v14, v14
	;; [unrolled: 1-line block ×3, first 2 shown]
	s_delay_alu instid0(VALU_DEP_4) | instskip(SKIP_3) | instid1(VALU_DEP_4)
	v_cvt_f32_f16_e32 v19, v19
	v_cvt_f32_f16_e32 v11, v11
	;; [unrolled: 1-line block ×4, first 2 shown]
	v_dual_add_f32 v10, v10, v14 :: v_dual_add_f32 v13, v13, v19
	v_cvt_f32_f16_e32 v14, v20
	s_wait_loadcnt 0x0
	v_dual_lshrrev_b32 v19, 16, v16 :: v_dual_add_f32 v11, v11, v15
	s_wait_dscnt 0x0
	v_fma_mixlo_f16 v10, v12, v10, 0
	v_fma_mixlo_f16 v13, v12, v13, 0
	v_dual_add_f32 v14, v18, v14 :: v_dual_lshrrev_b32 v15, 16, v17
	v_fma_mixlo_f16 v11, v12, v11, 0
	s_delay_alu instid0(VALU_DEP_4) | instskip(NEXT) | instid1(VALU_DEP_4)
	v_mul_f16_e32 v10, v16, v10
	v_mul_f16_e32 v13, v19, v13
	s_delay_alu instid0(VALU_DEP_4) | instskip(NEXT) | instid1(VALU_DEP_4)
	v_fma_mixlo_f16 v14, v12, v14, 0
	v_mul_f16_e32 v11, v17, v11
	s_delay_alu instid0(VALU_DEP_4) | instskip(NEXT) | instid1(VALU_DEP_4)
	v_cvt_f32_f16_e64 v10, |v10|
	v_cvt_f32_f16_e64 v13, |v13|
	s_delay_alu instid0(VALU_DEP_4) | instskip(NEXT) | instid1(VALU_DEP_4)
	v_mul_f16_e32 v14, v15, v14
	v_cvt_f32_f16_e64 v11, |v11|
	s_delay_alu instid0(VALU_DEP_3) | instskip(NEXT) | instid1(VALU_DEP_3)
	v_max3_num_f32 v8, v8, v10, v13
	v_cvt_f32_f16_e64 v14, |v14|
	v_add_nc_u32_e32 v10, s26, v9
	s_delay_alu instid0(VALU_DEP_2) | instskip(NEXT) | instid1(VALU_DEP_2)
	v_max3_num_f32 v8, v8, v11, v14
	v_cmpx_gt_u32_e64 s33, v10
	s_cbranch_execz .LBB7_56
; %bb.58:                               ;   in Loop: Header=BB7_57 Depth=1
	s_clause 0x2
	global_load_b64 v[14:15], v10, s[10:11] scale_offset
	global_load_b64 v[16:17], v10, s[16:17] scale_offset
	;; [unrolled: 1-line block ×3, first 2 shown]
	s_mov_b32 s37, -1
	s_mov_b32 s36, exec_lo
	s_wait_loadcnt 0x2
	v_dual_lshrrev_b32 v11, 16, v14 :: v_dual_lshrrev_b32 v13, 16, v15
	s_wait_loadcnt 0x1
	v_dual_lshrrev_b32 v20, 16, v16 :: v_dual_lshrrev_b32 v21, 16, v17
	v_cvt_f32_f16_e32 v14, v14
	v_cvt_f32_f16_e32 v16, v16
	;; [unrolled: 1-line block ×3, first 2 shown]
	s_delay_alu instid0(VALU_DEP_4)
	v_cvt_f32_f16_e32 v20, v20
	v_cvt_f32_f16_e32 v15, v15
	;; [unrolled: 1-line block ×4, first 2 shown]
	v_add_f32_e32 v14, v14, v16
	v_cvt_f32_f16_e32 v16, v21
	s_wait_loadcnt 0x0
	v_dual_add_f32 v11, v11, v20 :: v_dual_lshrrev_b32 v20, 16, v18
	v_add_f32_e32 v15, v15, v17
	v_fma_mixlo_f16 v14, v12, v14, 0
	v_dual_add_f32 v13, v13, v16 :: v_dual_lshrrev_b32 v16, 16, v19
	s_delay_alu instid0(VALU_DEP_4) | instskip(NEXT) | instid1(VALU_DEP_4)
	v_fma_mixlo_f16 v11, v12, v11, 0
	v_fma_mixlo_f16 v15, v12, v15, 0
	s_delay_alu instid0(VALU_DEP_4) | instskip(NEXT) | instid1(VALU_DEP_4)
	v_mul_f16_e32 v14, v18, v14
	v_fma_mixlo_f16 v13, v12, v13, 0
	s_delay_alu instid0(VALU_DEP_4) | instskip(NEXT) | instid1(VALU_DEP_4)
	v_mul_f16_e32 v11, v20, v11
	v_mul_f16_e32 v15, v19, v15
	s_delay_alu instid0(VALU_DEP_4) | instskip(NEXT) | instid1(VALU_DEP_4)
	v_cvt_f32_f16_e64 v14, |v14|
	v_mul_f16_e32 v13, v16, v13
	s_delay_alu instid0(VALU_DEP_4) | instskip(NEXT) | instid1(VALU_DEP_4)
	v_cvt_f32_f16_e64 v11, |v11|
	v_cvt_f32_f16_e64 v15, |v15|
	s_delay_alu instid0(VALU_DEP_3) | instskip(NEXT) | instid1(VALU_DEP_3)
	v_cvt_f32_f16_e64 v13, |v13|
	v_max3_num_f32 v8, v8, v14, v11
	v_add_nc_u32_e32 v11, s23, v9
	s_delay_alu instid0(VALU_DEP_2) | instskip(NEXT) | instid1(VALU_DEP_2)
	v_max3_num_f32 v8, v8, v15, v13
	v_cmpx_gt_u32_e64 s33, v11
	s_cbranch_execz .LBB7_55
; %bb.59:                               ;   in Loop: Header=BB7_57 Depth=1
	s_clause 0x2
	global_load_b64 v[14:15], v11, s[10:11] scale_offset
	global_load_b64 v[16:17], v11, s[16:17] scale_offset
	;; [unrolled: 1-line block ×3, first 2 shown]
	s_mov_b32 s38, -1
	s_mov_b32 s37, exec_lo
	s_wait_loadcnt 0x2
	s_wait_xcnt 0x0
	v_dual_lshrrev_b32 v11, 16, v14 :: v_dual_lshrrev_b32 v13, 16, v15
	s_wait_loadcnt 0x1
	v_dual_lshrrev_b32 v20, 16, v16 :: v_dual_lshrrev_b32 v21, 16, v17
	v_cvt_f32_f16_e32 v14, v14
	v_cvt_f32_f16_e32 v16, v16
	;; [unrolled: 1-line block ×3, first 2 shown]
	s_delay_alu instid0(VALU_DEP_4)
	v_cvt_f32_f16_e32 v20, v20
	v_cvt_f32_f16_e32 v15, v15
	;; [unrolled: 1-line block ×4, first 2 shown]
	v_add_f32_e32 v14, v14, v16
	v_cvt_f32_f16_e32 v16, v21
	s_wait_loadcnt 0x0
	v_dual_add_f32 v11, v11, v20 :: v_dual_lshrrev_b32 v20, 16, v18
	v_add_f32_e32 v15, v15, v17
	v_fma_mixlo_f16 v14, v12, v14, 0
	v_dual_add_f32 v13, v13, v16 :: v_dual_lshrrev_b32 v16, 16, v19
	s_delay_alu instid0(VALU_DEP_4) | instskip(NEXT) | instid1(VALU_DEP_4)
	v_fma_mixlo_f16 v11, v12, v11, 0
	v_fma_mixlo_f16 v15, v12, v15, 0
	s_delay_alu instid0(VALU_DEP_4) | instskip(NEXT) | instid1(VALU_DEP_4)
	v_mul_f16_e32 v14, v18, v14
	v_fma_mixlo_f16 v13, v12, v13, 0
	s_delay_alu instid0(VALU_DEP_4) | instskip(NEXT) | instid1(VALU_DEP_4)
	v_mul_f16_e32 v11, v20, v11
	v_mul_f16_e32 v15, v19, v15
	s_delay_alu instid0(VALU_DEP_4) | instskip(NEXT) | instid1(VALU_DEP_4)
	v_cvt_f32_f16_e64 v14, |v14|
	v_mul_f16_e32 v13, v16, v13
	s_delay_alu instid0(VALU_DEP_4) | instskip(NEXT) | instid1(VALU_DEP_4)
	v_cvt_f32_f16_e64 v11, |v11|
	v_cvt_f32_f16_e64 v15, |v15|
	s_delay_alu instid0(VALU_DEP_3) | instskip(NEXT) | instid1(VALU_DEP_3)
	v_cvt_f32_f16_e64 v13, |v13|
	v_max3_num_f32 v8, v8, v14, v11
	v_add_nc_u32_e32 v11, s30, v9
                                        ; implicit-def: $vgpr9
	s_delay_alu instid0(VALU_DEP_2) | instskip(NEXT) | instid1(VALU_DEP_2)
	v_max3_num_f32 v8, v8, v15, v13
	v_cmpx_gt_u32_e64 s33, v11
	s_xor_b32 s37, exec_lo, s37
	s_cbranch_execz .LBB7_54
; %bb.60:                               ;   in Loop: Header=BB7_57 Depth=1
	s_clause 0x2
	global_load_b64 v[14:15], v11, s[10:11] scale_offset
	global_load_b64 v[16:17], v11, s[16:17] scale_offset
	global_load_b64 v[18:19], v11, s[18:19] scale_offset
	s_wait_loadcnt 0x2
	s_wait_xcnt 0x0
	v_dual_lshrrev_b32 v9, 16, v14 :: v_dual_lshrrev_b32 v11, 16, v15
	s_wait_loadcnt 0x1
	v_dual_lshrrev_b32 v13, 16, v16 :: v_dual_lshrrev_b32 v20, 16, v17
	v_cvt_f32_f16_e32 v14, v14
	v_cvt_f32_f16_e32 v16, v16
	;; [unrolled: 1-line block ×3, first 2 shown]
	s_delay_alu instid0(VALU_DEP_4) | instskip(SKIP_3) | instid1(VALU_DEP_4)
	v_cvt_f32_f16_e32 v13, v13
	v_cvt_f32_f16_e32 v15, v15
	;; [unrolled: 1-line block ×4, first 2 shown]
	v_dual_add_f32 v14, v14, v16 :: v_dual_add_f32 v9, v9, v13
	v_cvt_f32_f16_e32 v13, v20
	s_wait_loadcnt 0x0
	v_dual_add_f32 v15, v15, v17 :: v_dual_lshrrev_b32 v16, 16, v18
	s_delay_alu instid0(VALU_DEP_3) | instskip(SKIP_2) | instid1(VALU_DEP_4)
	v_fma_mixlo_f16 v14, v12, v14, 0
	v_fma_mixlo_f16 v9, v12, v9, 0
	v_dual_add_f32 v11, v11, v13 :: v_dual_lshrrev_b32 v13, 16, v19
	v_fma_mixlo_f16 v15, v12, v15, 0
	s_delay_alu instid0(VALU_DEP_4) | instskip(NEXT) | instid1(VALU_DEP_4)
	v_mul_f16_e32 v14, v18, v14
	v_mul_f16_e32 v9, v16, v9
	s_delay_alu instid0(VALU_DEP_4) | instskip(NEXT) | instid1(VALU_DEP_4)
	v_fma_mixlo_f16 v11, v12, v11, 0
	v_mul_f16_e32 v15, v19, v15
	s_delay_alu instid0(VALU_DEP_4) | instskip(NEXT) | instid1(VALU_DEP_4)
	v_cvt_f32_f16_e64 v14, |v14|
	v_cvt_f32_f16_e64 v16, |v9|
	s_delay_alu instid0(VALU_DEP_4) | instskip(SKIP_2) | instid1(VALU_DEP_4)
	v_mul_f16_e32 v11, v13, v11
	v_add3_u32 v9, s31, s26, v10
	v_cvt_f32_f16_e64 v10, |v15|
	v_max3_num_f32 v8, v8, v14, v16
	s_delay_alu instid0(VALU_DEP_4) | instskip(NEXT) | instid1(VALU_DEP_4)
	v_cvt_f32_f16_e64 v11, |v11|
	v_cmp_le_u32_e32 vcc_lo, s33, v9
	s_delay_alu instid0(VALU_DEP_2)
	v_max3_num_f32 v8, v8, v10, v11
	s_or_not1_b32 s38, vcc_lo, exec_lo
	s_branch .LBB7_54
.LBB7_61:
	s_or_b32 exec_lo, exec_lo, s27
.LBB7_62:
	s_delay_alu instid0(SALU_CYCLE_1)
	s_or_b32 exec_lo, exec_lo, s22
	ds_bpermute_b32 v3, v3, v8
	v_or_b32_e32 v9, 0x80, v2
	s_wait_dscnt 0x0
	v_cmp_lt_f32_e32 vcc_lo, v8, v3
	v_cndmask_b32_e32 v3, v8, v3, vcc_lo
	s_delay_alu instid0(VALU_DEP_1) | instskip(SKIP_1) | instid1(SALU_CYCLE_1)
	v_cndmask_b32_e64 v3, v8, v3, s1
	s_or_b32 s1, s1, s2
	s_or_b32 s1, s3, s1
	s_delay_alu instid0(SALU_CYCLE_1)
	s_or_b32 s1, s4, s1
	ds_bpermute_b32 v4, v4, v3
	s_or_b32 s1, s5, s1
	s_wait_dscnt 0x0
	v_cmp_lt_f32_e32 vcc_lo, v3, v4
	v_cndmask_b32_e32 v4, v3, v4, vcc_lo
	s_delay_alu instid0(VALU_DEP_1) | instskip(SKIP_4) | instid1(VALU_DEP_1)
	v_cndmask_b32_e64 v3, v3, v4, s2
	ds_bpermute_b32 v4, v5, v3
	s_wait_dscnt 0x0
	v_cmp_lt_f32_e32 vcc_lo, v3, v4
	v_cndmask_b32_e32 v4, v3, v4, vcc_lo
	v_cndmask_b32_e64 v3, v3, v4, s3
	ds_bpermute_b32 v4, v6, v3
	s_wait_dscnt 0x0
	v_cmp_lt_f32_e32 vcc_lo, v3, v4
	v_cndmask_b32_e32 v4, v3, v4, vcc_lo
	s_delay_alu instid0(VALU_DEP_1) | instskip(SKIP_4) | instid1(VALU_DEP_1)
	v_cndmask_b32_e64 v3, v3, v4, s4
	ds_bpermute_b32 v4, v7, v3
	s_wait_dscnt 0x0
	v_cmp_lt_f32_e32 vcc_lo, v3, v4
	v_cndmask_b32_e32 v4, v3, v4, vcc_lo
	v_cndmask_b32_e64 v3, v3, v4, s5
	ds_bpermute_b32 v4, v9, v3
	s_wait_dscnt 0x0
	v_cmp_lt_f32_e32 vcc_lo, v3, v4
	s_and_b32 vcc_lo, s8, vcc_lo
	v_cndmask_b32_e32 v3, v3, v4, vcc_lo
	s_or_b32 vcc_lo, s8, s1
	s_delay_alu instid0(VALU_DEP_1)
	v_cndmask_b32_e32 v3, v8, v3, vcc_lo
	s_and_saveexec_b32 s1, s6
; %bb.63:
	v_lshrrev_b32_e32 v4, 4, v0
	s_delay_alu instid0(VALU_DEP_1)
	v_and_b32_e32 v4, 60, v4
	ds_store_b32 v4, v3 offset:64
; %bb.64:
	s_or_b32 exec_lo, exec_lo, s1
	s_wait_dscnt 0x0
	s_barrier_signal -1
	s_barrier_wait -1
	s_and_saveexec_b32 s3, s7
	s_cbranch_execz .LBB7_66
; %bb.65:
	ds_load_b32 v3, v2 offset:64
	v_and_b32_e32 v4, 15, v1
	s_add_co_i32 s1, s26, 63
	v_or_b32_e32 v2, 32, v2
	s_lshr_b32 s2, s1, 6
	s_delay_alu instid0(VALU_DEP_2) | instskip(SKIP_4) | instid1(VALU_DEP_3)
	v_cmp_ne_u32_e32 vcc_lo, 15, v4
	v_add_nc_u32_e32 v6, 1, v4
	v_cmp_gt_u32_e64 s1, 12, v4
	v_add_co_ci_u32_e64 v5, null, 0, v1, vcc_lo
	v_cmp_gt_u32_e32 vcc_lo, 14, v4
	v_cndmask_b32_e64 v8, 0, 4, s1
	s_delay_alu instid0(VALU_DEP_3)
	v_lshlrev_b32_e32 v5, 2, v5
	v_cndmask_b32_e64 v7, 0, 2, vcc_lo
	s_wait_dscnt 0x0
	ds_bpermute_b32 v5, v5, v3
	v_add_lshl_u32 v7, v7, v1, 2
	v_add_lshl_u32 v1, v8, v1, 2
	s_wait_dscnt 0x0
	v_cmp_lt_f32_e32 vcc_lo, v3, v5
	v_cndmask_b32_e32 v5, v3, v5, vcc_lo
	v_cmp_gt_u32_e32 vcc_lo, s2, v6
	s_delay_alu instid0(VALU_DEP_2) | instskip(SKIP_3) | instid1(VALU_DEP_1)
	v_cndmask_b32_e32 v5, v3, v5, vcc_lo
	ds_bpermute_b32 v6, v7, v5
	s_wait_dscnt 0x0
	v_cmp_lt_f32_e64 s1, v5, v6
	v_dual_cndmask_b32 v6, v5, v6, s1 :: v_dual_add_nc_u32 v7, 2, v4
	s_delay_alu instid0(VALU_DEP_1) | instskip(NEXT) | instid1(VALU_DEP_1)
	v_cmp_gt_u32_e64 s1, s2, v7
	v_dual_cndmask_b32 v5, v5, v6, s1 :: v_dual_add_nc_u32 v6, 4, v4
	v_add_nc_u32_e32 v4, 8, v4
	ds_bpermute_b32 v1, v1, v5
	s_wait_dscnt 0x0
	v_cmp_lt_f32_e64 s1, v5, v1
	s_delay_alu instid0(VALU_DEP_1) | instskip(SKIP_1) | instid1(VALU_DEP_1)
	v_cndmask_b32_e64 v1, v5, v1, s1
	v_cmp_gt_u32_e64 s1, s2, v6
	v_cndmask_b32_e64 v1, v5, v1, s1
	v_cmp_gt_u32_e64 s1, s2, v4
	ds_bpermute_b32 v2, v2, v1
	s_wait_dscnt 0x0
	v_cmp_lt_f32_e64 s2, v1, v2
	s_and_b32 s1, s1, s2
	s_delay_alu instid0(SALU_CYCLE_1) | instskip(NEXT) | instid1(VALU_DEP_1)
	v_cndmask_b32_e64 v1, v1, v2, s1
	v_cndmask_b32_e32 v3, v3, v1, vcc_lo
.LBB7_66:
	s_or_b32 exec_lo, exec_lo, s3
	s_and_saveexec_b32 s1, s9
	s_cbranch_execz .LBB7_70
; %bb.67:
	s_cmp_eq_u64 s[20:21], 0
	s_cbranch_scc1 .LBB7_69
; %bb.68:
	v_dual_mov_b32 v1, 0 :: v_dual_max_num_f32 v2, v3, v3
	global_load_b32 v1, v1, s[20:21]
	s_wait_loadcnt 0x0
	v_max_num_f32_e32 v1, v1, v1
	s_delay_alu instid0(VALU_DEP_1)
	v_min_num_f32_e32 v3, v2, v1
.LBB7_69:
	s_delay_alu instid0(VALU_DEP_1)
	v_div_scale_f32 v1, null, 0x43600000, 0x43600000, v3
	v_div_scale_f32 v5, vcc_lo, v3, 0x43600000, v3
	s_lshl_b64 s[2:3], s[28:29], 2
	v_rcp_f32_e32 v2, v1
	s_add_nc_u64 s[2:3], s[14:15], s[2:3]
	v_nop
	s_delay_alu instid0(TRANS32_DEP_1) | instskip(NEXT) | instid1(VALU_DEP_1)
	v_fma_f32 v4, -v1, v2, 1.0
	v_fmac_f32_e32 v2, v4, v2
	s_delay_alu instid0(VALU_DEP_1) | instskip(NEXT) | instid1(VALU_DEP_1)
	v_mul_f32_e32 v4, v5, v2
	v_fma_f32 v6, -v1, v4, v5
	s_delay_alu instid0(VALU_DEP_1) | instskip(NEXT) | instid1(VALU_DEP_1)
	v_fmac_f32_e32 v4, v6, v2
	v_fma_f32 v1, -v1, v4, v5
	s_delay_alu instid0(VALU_DEP_1) | instskip(SKIP_1) | instid1(VALU_DEP_2)
	v_div_fmas_f32 v1, v1, v2, v4
	v_mov_b32_e32 v2, 0
	v_div_fixup_f32 v1, v1, 0x43600000, v3
	s_delay_alu instid0(VALU_DEP_1)
	v_max_num_f32_e32 v1, 0x37124925, v1
	ds_store_b32 v2, v1 offset:260
	global_store_b32 v2, v1, s[2:3]
.LBB7_70:
	s_wait_xcnt 0x0
	s_or_b32 exec_lo, exec_lo, s1
	s_wait_storecnt_dscnt 0x0
	s_barrier_signal -1
	s_barrier_wait -1
	s_and_saveexec_b32 s1, s0
	s_cbranch_execz .LBB7_207
; %bb.71:
	v_mov_b32_e32 v1, 0
	s_add_nc_u64 s[0:1], s[12:13], s[24:25]
	s_lshl_b32 s2, s26, 1
	s_mul_i32 s3, s26, 3
	s_mov_b32 s4, 0
	ds_load_b32 v13, v1 offset:260
	s_mov_b32 s5, 0x43600000
	s_add_co_i32 s6, s26, s26
	s_branch .LBB7_77
.LBB7_72:                               ;   in Loop: Header=BB7_77 Depth=1
	s_or_b32 exec_lo, exec_lo, s14
.LBB7_73:                               ;   in Loop: Header=BB7_77 Depth=1
	s_delay_alu instid0(SALU_CYCLE_1) | instskip(SKIP_3) | instid1(VALU_DEP_2)
	s_or_b32 exec_lo, exec_lo, s12
	v_lshl_add_u64 v[10:11], v[0:1], 2, s[0:1]
	v_add3_u32 v0, s6, s26, v2
	v_or_b32_e32 v2, v4, v3
	v_cmp_le_u32_e32 vcc_lo, s33, v0
	s_delay_alu instid0(VALU_DEP_2)
	v_or3_b32 v2, v2, v6, v8
	s_or_not1_b32 s12, vcc_lo, exec_lo
	global_store_b32 v[10:11], v2, off
.LBB7_74:                               ;   in Loop: Header=BB7_77 Depth=1
	s_wait_xcnt 0x0
	s_or_b32 exec_lo, exec_lo, s9
	s_delay_alu instid0(SALU_CYCLE_1)
	s_or_not1_b32 s9, s12, exec_lo
.LBB7_75:                               ;   in Loop: Header=BB7_77 Depth=1
	s_or_b32 exec_lo, exec_lo, s8
	s_delay_alu instid0(SALU_CYCLE_1)
	s_or_not1_b32 s8, s9, exec_lo
.LBB7_76:                               ;   in Loop: Header=BB7_77 Depth=1
	s_or_b32 exec_lo, exec_lo, s7
	s_delay_alu instid0(SALU_CYCLE_1) | instskip(NEXT) | instid1(SALU_CYCLE_1)
	s_and_b32 s7, exec_lo, s8
	s_or_b32 s4, s7, s4
	s_delay_alu instid0(SALU_CYCLE_1)
	s_and_not1_b32 exec_lo, exec_lo, s4
	s_cbranch_execz .LBB7_207
.LBB7_77:                               ; =>This Inner Loop Header: Depth=1
	s_clause 0x2
	global_load_b64 v[4:5], v0, s[10:11] scale_offset
	global_load_b64 v[8:9], v0, s[16:17] scale_offset
	;; [unrolled: 1-line block ×3, first 2 shown]
	s_mov_b32 s7, exec_lo
	s_wait_loadcnt 0x2
	v_lshrrev_b32_e32 v7, 16, v4
	s_wait_loadcnt 0x1
	v_lshrrev_b32_e32 v11, 16, v8
	v_cvt_f32_f16_e32 v6, v4
	v_cvt_f32_f16_e32 v10, v8
	;; [unrolled: 1-line block ×3, first 2 shown]
	s_delay_alu instid0(VALU_DEP_4) | instskip(NEXT) | instid1(VALU_DEP_1)
	v_cvt_f32_f16_e32 v11, v11
	v_pk_add_f32 v[6:7], v[6:7], v[10:11]
	s_delay_alu instid0(VALU_DEP_1) | instskip(SKIP_1) | instid1(VALU_DEP_1)
	v_fma_mixlo_f16 v4, v12, v6, 0
	s_wait_loadcnt 0x0
	v_mul_f16_e32 v4, v2, v4
	s_delay_alu instid0(VALU_DEP_1) | instskip(SKIP_1) | instid1(VALU_DEP_1)
	v_cvt_f32_f16_e32 v8, v4
	s_wait_dscnt 0x0
	v_div_scale_f32 v4, null, v13, v13, v8
	v_div_scale_f32 v14, vcc_lo, v8, v13, v8
	s_delay_alu instid0(VALU_DEP_2) | instskip(SKIP_1) | instid1(TRANS32_DEP_1)
	v_rcp_f32_e32 v10, v4
	v_nop
	v_fma_f32 v11, -v4, v10, 1.0
	s_delay_alu instid0(VALU_DEP_1) | instskip(NEXT) | instid1(VALU_DEP_1)
	v_fmac_f32_e32 v10, v11, v10
	v_mul_f32_e32 v11, v14, v10
	s_delay_alu instid0(VALU_DEP_1) | instskip(NEXT) | instid1(VALU_DEP_1)
	v_fma_f32 v15, -v4, v11, v14
	v_fmac_f32_e32 v11, v15, v10
	s_delay_alu instid0(VALU_DEP_1) | instskip(NEXT) | instid1(VALU_DEP_1)
	v_dual_fma_f32 v4, -v4, v11, v14 :: v_dual_lshrrev_b32 v14, 16, v9
	v_div_fmas_f32 v10, v4, v10, v11
	v_lshrrev_b32_e32 v11, 16, v5
	v_cvt_f32_f16_e32 v4, v5
	s_delay_alu instid0(VALU_DEP_3) | instskip(SKIP_1) | instid1(VALU_DEP_4)
	v_div_fixup_f32 v8, v10, v13, v8
	v_cvt_f32_f16_e32 v10, v9
	v_cvt_f32_f16_e32 v5, v11
	;; [unrolled: 1-line block ×3, first 2 shown]
	s_delay_alu instid0(VALU_DEP_4) | instskip(NEXT) | instid1(VALU_DEP_2)
	v_minmax_num_f32 v8, v8, s5, 0xc3600000
	v_pk_add_f32 v[4:5], v[4:5], v[10:11]
	v_cvt_pk_f16_f32 v10, v6, v7
	s_delay_alu instid0(VALU_DEP_3) | instskip(SKIP_1) | instid1(VALU_DEP_4)
	v_and_b32_e32 v9, 0x7fffffff, v8
	v_mov_b32_e32 v6, 0x80
	v_cvt_pk_f16_f32 v11, v4, v5
	global_store_b64 v0, v[10:11], s[16:17] scale_offset
	s_wait_xcnt 0x0
	v_cmpx_gt_u32_e32 0x43800000, v9
	s_cbranch_execz .LBB7_83
; %bb.78:                               ;   in Loop: Header=BB7_77 Depth=1
	v_cmp_lt_u32_e32 vcc_lo, 0x3bffffff, v9
	s_mov_b32 s8, 0
                                        ; implicit-def: $vgpr9
	s_and_saveexec_b32 s9, vcc_lo
	s_delay_alu instid0(SALU_CYCLE_1)
	s_xor_b32 s9, exec_lo, s9
	s_cbranch_execnz .LBB7_174
; %bb.79:                               ;   in Loop: Header=BB7_77 Depth=1
	s_and_not1_saveexec_b32 s9, s9
	s_cbranch_execnz .LBB7_175
.LBB7_80:                               ;   in Loop: Header=BB7_77 Depth=1
	s_or_b32 exec_lo, exec_lo, s9
	v_mov_b32_e32 v6, 0
	s_and_saveexec_b32 s9, s8
.LBB7_81:                               ;   in Loop: Header=BB7_77 Depth=1
	v_lshrrev_b32_e32 v6, 24, v8
	s_delay_alu instid0(VALU_DEP_1)
	v_and_or_b32 v6, 0x80, v6, v9
.LBB7_82:                               ;   in Loop: Header=BB7_77 Depth=1
	s_or_b32 exec_lo, exec_lo, s9
.LBB7_83:                               ;   in Loop: Header=BB7_77 Depth=1
	s_delay_alu instid0(SALU_CYCLE_1) | instskip(SKIP_3) | instid1(VALU_DEP_1)
	s_or_b32 exec_lo, exec_lo, s7
	v_lshrrev_b32_e32 v2, 16, v2
	v_fma_mixlo_f16 v7, v12, v7, 0
	s_mov_b32 s7, exec_lo
	v_mul_f16_e32 v2, v2, v7
	s_delay_alu instid0(VALU_DEP_1) | instskip(NEXT) | instid1(VALU_DEP_1)
	v_cvt_f32_f16_e32 v2, v2
	v_div_scale_f32 v7, null, v13, v13, v2
	v_div_scale_f32 v10, vcc_lo, v2, v13, v2
	s_delay_alu instid0(VALU_DEP_2) | instskip(SKIP_1) | instid1(TRANS32_DEP_1)
	v_rcp_f32_e32 v8, v7
	v_nop
	v_fma_f32 v9, -v7, v8, 1.0
	s_delay_alu instid0(VALU_DEP_1) | instskip(NEXT) | instid1(VALU_DEP_1)
	v_fmac_f32_e32 v8, v9, v8
	v_mul_f32_e32 v9, v10, v8
	s_delay_alu instid0(VALU_DEP_1) | instskip(NEXT) | instid1(VALU_DEP_1)
	v_fma_f32 v11, -v7, v9, v10
	v_fmac_f32_e32 v9, v11, v8
	s_delay_alu instid0(VALU_DEP_1) | instskip(NEXT) | instid1(VALU_DEP_1)
	v_fma_f32 v7, -v7, v9, v10
	v_div_fmas_f32 v7, v7, v8, v9
	s_delay_alu instid0(VALU_DEP_1) | instskip(NEXT) | instid1(VALU_DEP_1)
	v_div_fixup_f32 v2, v7, v13, v2
	v_minmax_num_f32 v7, v2, s5, 0xc3600000
	v_mov_b32_e32 v2, 0x8000
	s_delay_alu instid0(VALU_DEP_2) | instskip(NEXT) | instid1(VALU_DEP_1)
	v_and_b32_e32 v8, 0x7fffffff, v7
	v_cmpx_gt_u32_e32 0x43800000, v8
	s_cbranch_execz .LBB7_89
; %bb.84:                               ;   in Loop: Header=BB7_77 Depth=1
	v_cmp_lt_u32_e32 vcc_lo, 0x3bffffff, v8
	s_mov_b32 s8, 0
                                        ; implicit-def: $vgpr8
	s_and_saveexec_b32 s9, vcc_lo
	s_delay_alu instid0(SALU_CYCLE_1)
	s_xor_b32 s9, exec_lo, s9
	s_cbranch_execnz .LBB7_176
; %bb.85:                               ;   in Loop: Header=BB7_77 Depth=1
	s_and_not1_saveexec_b32 s9, s9
	s_cbranch_execnz .LBB7_177
.LBB7_86:                               ;   in Loop: Header=BB7_77 Depth=1
	s_or_b32 exec_lo, exec_lo, s9
	v_mov_b32_e32 v2, 0
	s_and_saveexec_b32 s9, s8
.LBB7_87:                               ;   in Loop: Header=BB7_77 Depth=1
	v_lshrrev_b32_e32 v2, 24, v7
	s_delay_alu instid0(VALU_DEP_1) | instskip(NEXT) | instid1(VALU_DEP_1)
	v_and_or_b32 v2, 0x80, v2, v8
	v_lshlrev_b32_e32 v2, 8, v2
.LBB7_88:                               ;   in Loop: Header=BB7_77 Depth=1
	s_or_b32 exec_lo, exec_lo, s9
.LBB7_89:                               ;   in Loop: Header=BB7_77 Depth=1
	s_delay_alu instid0(SALU_CYCLE_1) | instskip(SKIP_2) | instid1(VALU_DEP_1)
	s_or_b32 exec_lo, exec_lo, s7
	v_fma_mixlo_f16 v4, v12, v4, 0
	s_mov_b32 s7, exec_lo
	v_mul_f16_e32 v4, v3, v4
	s_delay_alu instid0(VALU_DEP_1) | instskip(NEXT) | instid1(VALU_DEP_1)
	v_cvt_f32_f16_e32 v4, v4
	v_div_scale_f32 v7, null, v13, v13, v4
	v_div_scale_f32 v10, vcc_lo, v4, v13, v4
	s_delay_alu instid0(VALU_DEP_2) | instskip(SKIP_1) | instid1(TRANS32_DEP_1)
	v_rcp_f32_e32 v8, v7
	v_nop
	v_fma_f32 v9, -v7, v8, 1.0
	s_delay_alu instid0(VALU_DEP_1) | instskip(NEXT) | instid1(VALU_DEP_1)
	v_fmac_f32_e32 v8, v9, v8
	v_mul_f32_e32 v9, v10, v8
	s_delay_alu instid0(VALU_DEP_1) | instskip(NEXT) | instid1(VALU_DEP_1)
	v_fma_f32 v11, -v7, v9, v10
	v_fmac_f32_e32 v9, v11, v8
	s_delay_alu instid0(VALU_DEP_1) | instskip(NEXT) | instid1(VALU_DEP_1)
	v_fma_f32 v7, -v7, v9, v10
	v_div_fmas_f32 v7, v7, v8, v9
	s_delay_alu instid0(VALU_DEP_1) | instskip(NEXT) | instid1(VALU_DEP_1)
	v_div_fixup_f32 v4, v7, v13, v4
	v_minmax_num_f32 v7, v4, s5, 0xc3600000
	v_mov_b32_e32 v4, 0x800000
	s_delay_alu instid0(VALU_DEP_2) | instskip(NEXT) | instid1(VALU_DEP_1)
	v_and_b32_e32 v8, 0x7fffffff, v7
	v_cmpx_gt_u32_e32 0x43800000, v8
	s_cbranch_execz .LBB7_95
; %bb.90:                               ;   in Loop: Header=BB7_77 Depth=1
	v_cmp_lt_u32_e32 vcc_lo, 0x3bffffff, v8
	s_mov_b32 s8, 0
                                        ; implicit-def: $vgpr8
	s_and_saveexec_b32 s9, vcc_lo
	s_delay_alu instid0(SALU_CYCLE_1)
	s_xor_b32 s9, exec_lo, s9
	s_cbranch_execnz .LBB7_178
; %bb.91:                               ;   in Loop: Header=BB7_77 Depth=1
	s_and_not1_saveexec_b32 s9, s9
	s_cbranch_execnz .LBB7_179
.LBB7_92:                               ;   in Loop: Header=BB7_77 Depth=1
	s_or_b32 exec_lo, exec_lo, s9
	v_mov_b32_e32 v4, 0
	s_and_saveexec_b32 s9, s8
.LBB7_93:                               ;   in Loop: Header=BB7_77 Depth=1
	v_lshrrev_b32_e32 v4, 24, v7
	s_delay_alu instid0(VALU_DEP_1) | instskip(NEXT) | instid1(VALU_DEP_1)
	v_and_or_b32 v4, 0x80, v4, v8
	v_lshlrev_b32_e32 v4, 16, v4
.LBB7_94:                               ;   in Loop: Header=BB7_77 Depth=1
	s_or_b32 exec_lo, exec_lo, s9
.LBB7_95:                               ;   in Loop: Header=BB7_77 Depth=1
	s_delay_alu instid0(SALU_CYCLE_1) | instskip(SKIP_3) | instid1(VALU_DEP_1)
	s_or_b32 exec_lo, exec_lo, s7
	v_lshrrev_b32_e32 v3, 16, v3
	v_fma_mixlo_f16 v5, v12, v5, 0
	s_mov_b32 s7, exec_lo
	v_mul_f16_e32 v3, v3, v5
	s_delay_alu instid0(VALU_DEP_1) | instskip(NEXT) | instid1(VALU_DEP_1)
	v_cvt_f32_f16_e32 v3, v3
	v_div_scale_f32 v5, null, v13, v13, v3
	v_div_scale_f32 v9, vcc_lo, v3, v13, v3
	s_delay_alu instid0(VALU_DEP_2) | instskip(SKIP_1) | instid1(TRANS32_DEP_1)
	v_rcp_f32_e32 v7, v5
	v_nop
	v_fma_f32 v8, -v5, v7, 1.0
	s_delay_alu instid0(VALU_DEP_1) | instskip(NEXT) | instid1(VALU_DEP_1)
	v_fmac_f32_e32 v7, v8, v7
	v_mul_f32_e32 v8, v9, v7
	s_delay_alu instid0(VALU_DEP_1) | instskip(NEXT) | instid1(VALU_DEP_1)
	v_fma_f32 v10, -v5, v8, v9
	v_fmac_f32_e32 v8, v10, v7
	s_delay_alu instid0(VALU_DEP_1) | instskip(NEXT) | instid1(VALU_DEP_1)
	v_fma_f32 v5, -v5, v8, v9
	v_div_fmas_f32 v5, v5, v7, v8
	v_bfrev_b32_e32 v7, 1
	s_delay_alu instid0(VALU_DEP_2) | instskip(NEXT) | instid1(VALU_DEP_1)
	v_div_fixup_f32 v3, v5, v13, v3
	v_minmax_num_f32 v3, v3, s5, 0xc3600000
	s_delay_alu instid0(VALU_DEP_1) | instskip(NEXT) | instid1(VALU_DEP_1)
	v_and_b32_e32 v5, 0x7fffffff, v3
	v_cmpx_gt_u32_e32 0x43800000, v5
	s_cbranch_execz .LBB7_101
; %bb.96:                               ;   in Loop: Header=BB7_77 Depth=1
	v_cmp_lt_u32_e32 vcc_lo, 0x3bffffff, v5
	s_mov_b32 s8, 0
                                        ; implicit-def: $vgpr5
	s_and_saveexec_b32 s9, vcc_lo
	s_delay_alu instid0(SALU_CYCLE_1)
	s_xor_b32 s9, exec_lo, s9
	s_cbranch_execnz .LBB7_180
; %bb.97:                               ;   in Loop: Header=BB7_77 Depth=1
	s_and_not1_saveexec_b32 s9, s9
	s_cbranch_execnz .LBB7_181
.LBB7_98:                               ;   in Loop: Header=BB7_77 Depth=1
	s_or_b32 exec_lo, exec_lo, s9
	v_mov_b32_e32 v7, 0
	s_and_saveexec_b32 s9, s8
.LBB7_99:                               ;   in Loop: Header=BB7_77 Depth=1
	v_and_b32_e32 v3, 0x80000000, v3
	s_delay_alu instid0(VALU_DEP_1)
	v_lshl_or_b32 v7, v5, 24, v3
.LBB7_100:                              ;   in Loop: Header=BB7_77 Depth=1
	s_or_b32 exec_lo, exec_lo, s9
.LBB7_101:                              ;   in Loop: Header=BB7_77 Depth=1
	s_delay_alu instid0(SALU_CYCLE_1) | instskip(SKIP_4) | instid1(VALU_DEP_2)
	s_or_b32 exec_lo, exec_lo, s7
	v_dual_add_nc_u32 v2, s26, v0 :: v_dual_bitop2_b32 v3, v2, v6 bitop3:0x54
	v_lshl_add_u64 v[8:9], v[0:1], 2, s[0:1]
	s_mov_b32 s8, -1
	s_mov_b32 s7, exec_lo
	v_or3_b32 v3, v3, v4, v7
	global_store_b32 v[8:9], v3, off
	s_wait_xcnt 0x0
	v_cmpx_gt_u32_e64 s33, v2
	s_cbranch_execz .LBB7_76
; %bb.102:                              ;   in Loop: Header=BB7_77 Depth=1
	s_clause 0x2
	global_load_b64 v[6:7], v2, s[10:11] scale_offset
	global_load_b64 v[10:11], v2, s[16:17] scale_offset
	;; [unrolled: 1-line block ×3, first 2 shown]
	s_mov_b32 s8, exec_lo
	s_wait_loadcnt 0x2
	v_lshrrev_b32_e32 v3, 16, v6
	s_wait_loadcnt 0x1
	v_lshrrev_b32_e32 v15, 16, v10
	v_cvt_f32_f16_e32 v8, v6
	v_cvt_f32_f16_e32 v14, v10
	;; [unrolled: 1-line block ×3, first 2 shown]
	s_delay_alu instid0(VALU_DEP_4) | instskip(NEXT) | instid1(VALU_DEP_1)
	v_cvt_f32_f16_e32 v15, v15
	v_pk_add_f32 v[8:9], v[8:9], v[14:15]
	s_delay_alu instid0(VALU_DEP_1) | instskip(SKIP_1) | instid1(VALU_DEP_1)
	v_fma_mixlo_f16 v3, v12, v8, 0
	s_wait_loadcnt 0x0
	v_mul_f16_e32 v3, v4, v3
	s_delay_alu instid0(VALU_DEP_1) | instskip(NEXT) | instid1(VALU_DEP_1)
	v_cvt_f32_f16_e32 v3, v3
	v_div_scale_f32 v6, null, v13, v13, v3
	v_div_scale_f32 v15, vcc_lo, v3, v13, v3
	s_delay_alu instid0(VALU_DEP_2) | instskip(SKIP_1) | instid1(TRANS32_DEP_1)
	v_rcp_f32_e32 v10, v6
	v_nop
	v_fma_f32 v14, -v6, v10, 1.0
	s_delay_alu instid0(VALU_DEP_1) | instskip(NEXT) | instid1(VALU_DEP_1)
	v_fmac_f32_e32 v10, v14, v10
	v_mul_f32_e32 v14, v15, v10
	s_delay_alu instid0(VALU_DEP_1) | instskip(NEXT) | instid1(VALU_DEP_1)
	v_fma_f32 v16, -v6, v14, v15
	v_fmac_f32_e32 v14, v16, v10
	s_delay_alu instid0(VALU_DEP_1) | instskip(NEXT) | instid1(VALU_DEP_1)
	v_dual_fma_f32 v6, -v6, v14, v15 :: v_dual_lshrrev_b32 v15, 16, v11
	v_div_fmas_f32 v10, v6, v10, v14
	v_lshrrev_b32_e32 v14, 16, v7
	v_cvt_f32_f16_e32 v6, v7
	s_delay_alu instid0(VALU_DEP_3) | instskip(SKIP_1) | instid1(VALU_DEP_4)
	v_div_fixup_f32 v3, v10, v13, v3
	v_cvt_f32_f16_e32 v10, v11
	v_cvt_f32_f16_e32 v7, v14
	;; [unrolled: 1-line block ×3, first 2 shown]
	v_cvt_pk_f16_f32 v14, v8, v9
	v_minmax_num_f32 v3, v3, s5, 0xc3600000
	v_mov_b32_e32 v8, 0x80
	s_delay_alu instid0(VALU_DEP_4) | instskip(NEXT) | instid1(VALU_DEP_3)
	v_pk_add_f32 v[6:7], v[6:7], v[10:11]
	v_and_b32_e32 v10, 0x7fffffff, v3
	s_delay_alu instid0(VALU_DEP_2)
	v_cvt_pk_f16_f32 v15, v6, v7
	global_store_b64 v2, v[14:15], s[16:17] scale_offset
	s_wait_xcnt 0x0
	v_cmpx_gt_u32_e32 0x43800000, v10
	s_cbranch_execz .LBB7_108
; %bb.103:                              ;   in Loop: Header=BB7_77 Depth=1
	v_cmp_lt_u32_e32 vcc_lo, 0x3bffffff, v10
	s_mov_b32 s9, 0
                                        ; implicit-def: $vgpr10
	s_and_saveexec_b32 s12, vcc_lo
	s_delay_alu instid0(SALU_CYCLE_1)
	s_xor_b32 s12, exec_lo, s12
	s_cbranch_execnz .LBB7_182
; %bb.104:                              ;   in Loop: Header=BB7_77 Depth=1
	s_and_not1_saveexec_b32 s12, s12
	s_cbranch_execnz .LBB7_183
.LBB7_105:                              ;   in Loop: Header=BB7_77 Depth=1
	s_or_b32 exec_lo, exec_lo, s12
	v_mov_b32_e32 v8, 0
	s_and_saveexec_b32 s12, s9
.LBB7_106:                              ;   in Loop: Header=BB7_77 Depth=1
	v_lshrrev_b32_e32 v3, 24, v3
	s_delay_alu instid0(VALU_DEP_1)
	v_and_or_b32 v8, 0x80, v3, v10
.LBB7_107:                              ;   in Loop: Header=BB7_77 Depth=1
	s_or_b32 exec_lo, exec_lo, s12
.LBB7_108:                              ;   in Loop: Header=BB7_77 Depth=1
	s_delay_alu instid0(SALU_CYCLE_1) | instskip(SKIP_3) | instid1(VALU_DEP_1)
	s_or_b32 exec_lo, exec_lo, s8
	v_lshrrev_b32_e32 v3, 16, v4
	v_fma_mixlo_f16 v4, v12, v9, 0
	s_mov_b32 s8, exec_lo
	v_mul_f16_e32 v3, v3, v4
	s_delay_alu instid0(VALU_DEP_1) | instskip(NEXT) | instid1(VALU_DEP_1)
	v_cvt_f32_f16_e32 v3, v3
	v_div_scale_f32 v4, null, v13, v13, v3
	v_div_scale_f32 v11, vcc_lo, v3, v13, v3
	s_delay_alu instid0(VALU_DEP_2) | instskip(SKIP_1) | instid1(TRANS32_DEP_1)
	v_rcp_f32_e32 v9, v4
	v_nop
	v_fma_f32 v10, -v4, v9, 1.0
	s_delay_alu instid0(VALU_DEP_1) | instskip(NEXT) | instid1(VALU_DEP_1)
	v_fmac_f32_e32 v9, v10, v9
	v_mul_f32_e32 v10, v11, v9
	s_delay_alu instid0(VALU_DEP_1) | instskip(NEXT) | instid1(VALU_DEP_1)
	v_fma_f32 v14, -v4, v10, v11
	v_fmac_f32_e32 v10, v14, v9
	s_delay_alu instid0(VALU_DEP_1) | instskip(NEXT) | instid1(VALU_DEP_1)
	v_fma_f32 v4, -v4, v10, v11
	v_div_fmas_f32 v4, v4, v9, v10
	s_delay_alu instid0(VALU_DEP_1) | instskip(SKIP_1) | instid1(VALU_DEP_2)
	v_div_fixup_f32 v3, v4, v13, v3
	v_mov_b32_e32 v4, 0x8000
	v_minmax_num_f32 v3, v3, s5, 0xc3600000
	s_delay_alu instid0(VALU_DEP_1) | instskip(NEXT) | instid1(VALU_DEP_1)
	v_and_b32_e32 v9, 0x7fffffff, v3
	v_cmpx_gt_u32_e32 0x43800000, v9
	s_cbranch_execz .LBB7_114
; %bb.109:                              ;   in Loop: Header=BB7_77 Depth=1
	v_cmp_lt_u32_e32 vcc_lo, 0x3bffffff, v9
	s_mov_b32 s9, 0
                                        ; implicit-def: $vgpr9
	s_and_saveexec_b32 s12, vcc_lo
	s_delay_alu instid0(SALU_CYCLE_1)
	s_xor_b32 s12, exec_lo, s12
	s_cbranch_execnz .LBB7_184
; %bb.110:                              ;   in Loop: Header=BB7_77 Depth=1
	s_and_not1_saveexec_b32 s12, s12
	s_cbranch_execnz .LBB7_185
.LBB7_111:                              ;   in Loop: Header=BB7_77 Depth=1
	s_or_b32 exec_lo, exec_lo, s12
	v_mov_b32_e32 v4, 0
	s_and_saveexec_b32 s12, s9
.LBB7_112:                              ;   in Loop: Header=BB7_77 Depth=1
	v_lshrrev_b32_e32 v3, 24, v3
	s_delay_alu instid0(VALU_DEP_1) | instskip(NEXT) | instid1(VALU_DEP_1)
	v_and_or_b32 v3, 0x80, v3, v9
	v_lshlrev_b32_e32 v4, 8, v3
.LBB7_113:                              ;   in Loop: Header=BB7_77 Depth=1
	s_or_b32 exec_lo, exec_lo, s12
.LBB7_114:                              ;   in Loop: Header=BB7_77 Depth=1
	s_delay_alu instid0(SALU_CYCLE_1) | instskip(SKIP_2) | instid1(VALU_DEP_1)
	s_or_b32 exec_lo, exec_lo, s8
	v_fma_mixlo_f16 v3, v12, v6, 0
	s_mov_b32 s8, exec_lo
	v_mul_f16_e32 v3, v5, v3
	s_delay_alu instid0(VALU_DEP_1) | instskip(NEXT) | instid1(VALU_DEP_1)
	v_cvt_f32_f16_e32 v3, v3
	v_div_scale_f32 v6, null, v13, v13, v3
	v_div_scale_f32 v11, vcc_lo, v3, v13, v3
	s_delay_alu instid0(VALU_DEP_2) | instskip(SKIP_1) | instid1(TRANS32_DEP_1)
	v_rcp_f32_e32 v9, v6
	v_nop
	v_fma_f32 v10, -v6, v9, 1.0
	s_delay_alu instid0(VALU_DEP_1) | instskip(NEXT) | instid1(VALU_DEP_1)
	v_fmac_f32_e32 v9, v10, v9
	v_mul_f32_e32 v10, v11, v9
	s_delay_alu instid0(VALU_DEP_1) | instskip(NEXT) | instid1(VALU_DEP_1)
	v_fma_f32 v14, -v6, v10, v11
	v_fmac_f32_e32 v10, v14, v9
	s_delay_alu instid0(VALU_DEP_1) | instskip(NEXT) | instid1(VALU_DEP_1)
	v_fma_f32 v6, -v6, v10, v11
	v_div_fmas_f32 v6, v6, v9, v10
	s_delay_alu instid0(VALU_DEP_1) | instskip(SKIP_1) | instid1(VALU_DEP_2)
	v_div_fixup_f32 v3, v6, v13, v3
	v_mov_b32_e32 v6, 0x800000
	v_minmax_num_f32 v3, v3, s5, 0xc3600000
	s_delay_alu instid0(VALU_DEP_1) | instskip(NEXT) | instid1(VALU_DEP_1)
	v_and_b32_e32 v9, 0x7fffffff, v3
	v_cmpx_gt_u32_e32 0x43800000, v9
	s_cbranch_execz .LBB7_120
; %bb.115:                              ;   in Loop: Header=BB7_77 Depth=1
	v_cmp_lt_u32_e32 vcc_lo, 0x3bffffff, v9
	s_mov_b32 s9, 0
                                        ; implicit-def: $vgpr9
	s_and_saveexec_b32 s12, vcc_lo
	s_delay_alu instid0(SALU_CYCLE_1)
	s_xor_b32 s12, exec_lo, s12
	s_cbranch_execnz .LBB7_186
; %bb.116:                              ;   in Loop: Header=BB7_77 Depth=1
	s_and_not1_saveexec_b32 s12, s12
	s_cbranch_execnz .LBB7_187
.LBB7_117:                              ;   in Loop: Header=BB7_77 Depth=1
	s_or_b32 exec_lo, exec_lo, s12
	v_mov_b32_e32 v6, 0
	s_and_saveexec_b32 s12, s9
.LBB7_118:                              ;   in Loop: Header=BB7_77 Depth=1
	v_lshrrev_b32_e32 v3, 24, v3
	s_delay_alu instid0(VALU_DEP_1) | instskip(NEXT) | instid1(VALU_DEP_1)
	v_and_or_b32 v3, 0x80, v3, v9
	v_lshlrev_b32_e32 v6, 16, v3
.LBB7_119:                              ;   in Loop: Header=BB7_77 Depth=1
	s_or_b32 exec_lo, exec_lo, s12
.LBB7_120:                              ;   in Loop: Header=BB7_77 Depth=1
	s_delay_alu instid0(SALU_CYCLE_1) | instskip(SKIP_3) | instid1(VALU_DEP_1)
	s_or_b32 exec_lo, exec_lo, s8
	v_lshrrev_b32_e32 v3, 16, v5
	v_fma_mixlo_f16 v5, v12, v7, 0
	s_mov_b32 s8, exec_lo
	v_mul_f16_e32 v3, v3, v5
	s_delay_alu instid0(VALU_DEP_1) | instskip(NEXT) | instid1(VALU_DEP_1)
	v_cvt_f32_f16_e32 v3, v3
	v_div_scale_f32 v5, null, v13, v13, v3
	v_div_scale_f32 v10, vcc_lo, v3, v13, v3
	s_delay_alu instid0(VALU_DEP_2) | instskip(SKIP_1) | instid1(TRANS32_DEP_1)
	v_rcp_f32_e32 v7, v5
	v_nop
	v_fma_f32 v9, -v5, v7, 1.0
	s_delay_alu instid0(VALU_DEP_1) | instskip(NEXT) | instid1(VALU_DEP_1)
	v_fmac_f32_e32 v7, v9, v7
	v_mul_f32_e32 v9, v10, v7
	s_delay_alu instid0(VALU_DEP_1) | instskip(NEXT) | instid1(VALU_DEP_1)
	v_fma_f32 v11, -v5, v9, v10
	v_fmac_f32_e32 v9, v11, v7
	s_delay_alu instid0(VALU_DEP_1) | instskip(NEXT) | instid1(VALU_DEP_1)
	v_fma_f32 v5, -v5, v9, v10
	v_div_fmas_f32 v5, v5, v7, v9
	v_bfrev_b32_e32 v7, 1
	s_delay_alu instid0(VALU_DEP_2) | instskip(NEXT) | instid1(VALU_DEP_1)
	v_div_fixup_f32 v3, v5, v13, v3
	v_minmax_num_f32 v3, v3, s5, 0xc3600000
	s_delay_alu instid0(VALU_DEP_1) | instskip(NEXT) | instid1(VALU_DEP_1)
	v_and_b32_e32 v5, 0x7fffffff, v3
	v_cmpx_gt_u32_e32 0x43800000, v5
	s_cbranch_execz .LBB7_126
; %bb.121:                              ;   in Loop: Header=BB7_77 Depth=1
	v_cmp_lt_u32_e32 vcc_lo, 0x3bffffff, v5
	s_mov_b32 s9, 0
                                        ; implicit-def: $vgpr5
	s_and_saveexec_b32 s12, vcc_lo
	s_delay_alu instid0(SALU_CYCLE_1)
	s_xor_b32 s12, exec_lo, s12
	s_cbranch_execnz .LBB7_188
; %bb.122:                              ;   in Loop: Header=BB7_77 Depth=1
	s_and_not1_saveexec_b32 s12, s12
	s_cbranch_execnz .LBB7_189
.LBB7_123:                              ;   in Loop: Header=BB7_77 Depth=1
	s_or_b32 exec_lo, exec_lo, s12
	v_mov_b32_e32 v7, 0
	s_and_saveexec_b32 s12, s9
.LBB7_124:                              ;   in Loop: Header=BB7_77 Depth=1
	v_and_b32_e32 v3, 0x80000000, v3
	s_delay_alu instid0(VALU_DEP_1)
	v_lshl_or_b32 v7, v5, 24, v3
.LBB7_125:                              ;   in Loop: Header=BB7_77 Depth=1
	s_or_b32 exec_lo, exec_lo, s12
.LBB7_126:                              ;   in Loop: Header=BB7_77 Depth=1
	s_delay_alu instid0(SALU_CYCLE_1) | instskip(SKIP_4) | instid1(VALU_DEP_2)
	s_or_b32 exec_lo, exec_lo, s8
	v_dual_mov_b32 v3, v1 :: v_dual_bitop2_b32 v5, v4, v8 bitop3:0x54
	v_add_nc_u32_e32 v4, s2, v0
	s_mov_b32 s9, -1
	s_mov_b32 s8, exec_lo
	v_lshl_add_u64 v[8:9], v[2:3], 2, s[0:1]
	v_or3_b32 v3, v5, v6, v7
	global_store_b32 v[8:9], v3, off
	s_wait_xcnt 0x0
	v_cmpx_gt_u32_e64 s33, v4
	s_cbranch_execz .LBB7_75
; %bb.127:                              ;   in Loop: Header=BB7_77 Depth=1
	s_clause 0x2
	global_load_b64 v[8:9], v4, s[10:11] scale_offset
	global_load_b64 v[14:15], v4, s[16:17] scale_offset
	global_load_b64 v[6:7], v4, s[18:19] scale_offset
	s_mov_b32 s9, exec_lo
	s_wait_loadcnt 0x1
	v_dual_lshrrev_b32 v3, 16, v8 :: v_dual_lshrrev_b32 v5, 16, v14
	v_cvt_f32_f16_e32 v10, v8
	v_cvt_f32_f16_e32 v16, v14
	s_delay_alu instid0(VALU_DEP_3) | instskip(NEXT) | instid1(VALU_DEP_4)
	v_cvt_f32_f16_e32 v11, v3
	v_cvt_f32_f16_e32 v17, v5
	s_delay_alu instid0(VALU_DEP_1) | instskip(NEXT) | instid1(VALU_DEP_1)
	v_pk_add_f32 v[10:11], v[10:11], v[16:17]
	v_fma_mixlo_f16 v3, v12, v10, 0
	s_wait_loadcnt 0x0
	s_delay_alu instid0(VALU_DEP_1) | instskip(NEXT) | instid1(VALU_DEP_1)
	v_mul_f16_e32 v3, v6, v3
	v_cvt_f32_f16_e32 v3, v3
	s_delay_alu instid0(VALU_DEP_1) | instskip(SKIP_1) | instid1(VALU_DEP_2)
	v_div_scale_f32 v5, null, v13, v13, v3
	v_div_scale_f32 v16, vcc_lo, v3, v13, v3
	v_rcp_f32_e32 v8, v5
	v_nop
	s_delay_alu instid0(TRANS32_DEP_1) | instskip(NEXT) | instid1(VALU_DEP_1)
	v_fma_f32 v14, -v5, v8, 1.0
	v_fmac_f32_e32 v8, v14, v8
	s_delay_alu instid0(VALU_DEP_1) | instskip(NEXT) | instid1(VALU_DEP_1)
	v_mul_f32_e32 v14, v16, v8
	v_fma_f32 v17, -v5, v14, v16
	s_delay_alu instid0(VALU_DEP_1) | instskip(NEXT) | instid1(VALU_DEP_1)
	v_dual_fmac_f32 v14, v17, v8 :: v_dual_lshrrev_b32 v17, 16, v15
	v_dual_fma_f32 v5, -v5, v14, v16 :: v_dual_lshrrev_b32 v16, 16, v9
	s_delay_alu instid0(VALU_DEP_1) | instskip(SKIP_2) | instid1(VALU_DEP_4)
	v_div_fmas_f32 v5, v5, v8, v14
	v_cvt_f32_f16_e32 v8, v9
	v_cvt_f32_f16_e32 v14, v15
	;; [unrolled: 1-line block ×4, first 2 shown]
	v_div_fixup_f32 v3, v5, v13, v3
	v_cvt_pk_f16_f32 v16, v10, v11
	s_delay_alu instid0(VALU_DEP_3) | instskip(NEXT) | instid1(VALU_DEP_3)
	v_pk_add_f32 v[8:9], v[8:9], v[14:15]
	v_minmax_num_f32 v5, v3, s5, 0xc3600000
	v_mov_b32_e32 v3, 0x80
	s_delay_alu instid0(VALU_DEP_3) | instskip(NEXT) | instid1(VALU_DEP_3)
	v_cvt_pk_f16_f32 v17, v8, v9
	v_and_b32_e32 v14, 0x7fffffff, v5
	global_store_b64 v4, v[16:17], s[16:17] scale_offset
	s_wait_xcnt 0x0
	v_cmpx_gt_u32_e32 0x43800000, v14
	s_cbranch_execz .LBB7_133
; %bb.128:                              ;   in Loop: Header=BB7_77 Depth=1
	s_mov_b32 s12, 0
	s_mov_b32 s13, exec_lo
                                        ; implicit-def: $vgpr10
	v_cmpx_lt_u32_e32 0x3bffffff, v14
	s_xor_b32 s13, exec_lo, s13
	s_cbranch_execnz .LBB7_190
; %bb.129:                              ;   in Loop: Header=BB7_77 Depth=1
	s_and_not1_saveexec_b32 s13, s13
	s_cbranch_execnz .LBB7_191
.LBB7_130:                              ;   in Loop: Header=BB7_77 Depth=1
	s_or_b32 exec_lo, exec_lo, s13
	v_mov_b32_e32 v3, 0
	s_and_saveexec_b32 s13, s12
.LBB7_131:                              ;   in Loop: Header=BB7_77 Depth=1
	v_lshrrev_b32_e32 v3, 24, v5
	s_delay_alu instid0(VALU_DEP_1)
	v_and_or_b32 v3, 0x80, v3, v10
.LBB7_132:                              ;   in Loop: Header=BB7_77 Depth=1
	s_or_b32 exec_lo, exec_lo, s13
.LBB7_133:                              ;   in Loop: Header=BB7_77 Depth=1
	s_delay_alu instid0(SALU_CYCLE_1) | instskip(SKIP_3) | instid1(VALU_DEP_1)
	s_or_b32 exec_lo, exec_lo, s9
	v_lshrrev_b32_e32 v5, 16, v6
	v_fma_mixlo_f16 v6, v12, v11, 0
	s_mov_b32 s9, exec_lo
	v_mul_f16_e32 v5, v5, v6
	s_delay_alu instid0(VALU_DEP_1) | instskip(NEXT) | instid1(VALU_DEP_1)
	v_cvt_f32_f16_e32 v5, v5
	v_div_scale_f32 v6, null, v13, v13, v5
	v_div_scale_f32 v14, vcc_lo, v5, v13, v5
	s_delay_alu instid0(VALU_DEP_2) | instskip(SKIP_1) | instid1(TRANS32_DEP_1)
	v_rcp_f32_e32 v10, v6
	v_nop
	v_fma_f32 v11, -v6, v10, 1.0
	s_delay_alu instid0(VALU_DEP_1) | instskip(NEXT) | instid1(VALU_DEP_1)
	v_fmac_f32_e32 v10, v11, v10
	v_mul_f32_e32 v11, v14, v10
	s_delay_alu instid0(VALU_DEP_1) | instskip(NEXT) | instid1(VALU_DEP_1)
	v_fma_f32 v15, -v6, v11, v14
	v_fmac_f32_e32 v11, v15, v10
	s_delay_alu instid0(VALU_DEP_1) | instskip(NEXT) | instid1(VALU_DEP_1)
	v_fma_f32 v6, -v6, v11, v14
	v_div_fmas_f32 v6, v6, v10, v11
	s_delay_alu instid0(VALU_DEP_1) | instskip(SKIP_1) | instid1(VALU_DEP_2)
	v_div_fixup_f32 v5, v6, v13, v5
	v_mov_b32_e32 v6, 0x8000
	v_minmax_num_f32 v5, v5, s5, 0xc3600000
	s_delay_alu instid0(VALU_DEP_1) | instskip(NEXT) | instid1(VALU_DEP_1)
	v_and_b32_e32 v10, 0x7fffffff, v5
	v_cmpx_gt_u32_e32 0x43800000, v10
	s_cbranch_execz .LBB7_139
; %bb.134:                              ;   in Loop: Header=BB7_77 Depth=1
	v_cmp_lt_u32_e32 vcc_lo, 0x3bffffff, v10
	s_mov_b32 s12, 0
                                        ; implicit-def: $vgpr10
	s_and_saveexec_b32 s13, vcc_lo
	s_delay_alu instid0(SALU_CYCLE_1)
	s_xor_b32 s13, exec_lo, s13
	s_cbranch_execnz .LBB7_192
; %bb.135:                              ;   in Loop: Header=BB7_77 Depth=1
	s_and_not1_saveexec_b32 s13, s13
	s_cbranch_execnz .LBB7_193
.LBB7_136:                              ;   in Loop: Header=BB7_77 Depth=1
	s_or_b32 exec_lo, exec_lo, s13
	v_mov_b32_e32 v6, 0
	s_and_saveexec_b32 s13, s12
.LBB7_137:                              ;   in Loop: Header=BB7_77 Depth=1
	v_lshrrev_b32_e32 v5, 24, v5
	s_delay_alu instid0(VALU_DEP_1) | instskip(NEXT) | instid1(VALU_DEP_1)
	v_and_or_b32 v5, 0x80, v5, v10
	v_lshlrev_b32_e32 v6, 8, v5
.LBB7_138:                              ;   in Loop: Header=BB7_77 Depth=1
	s_or_b32 exec_lo, exec_lo, s13
.LBB7_139:                              ;   in Loop: Header=BB7_77 Depth=1
	s_delay_alu instid0(SALU_CYCLE_1) | instskip(SKIP_2) | instid1(VALU_DEP_1)
	s_or_b32 exec_lo, exec_lo, s9
	v_fma_mixlo_f16 v5, v12, v8, 0
	s_mov_b32 s9, exec_lo
	v_mul_f16_e32 v5, v7, v5
	s_delay_alu instid0(VALU_DEP_1) | instskip(NEXT) | instid1(VALU_DEP_1)
	v_cvt_f32_f16_e32 v5, v5
	v_div_scale_f32 v8, null, v13, v13, v5
	v_div_scale_f32 v14, vcc_lo, v5, v13, v5
	s_delay_alu instid0(VALU_DEP_2) | instskip(SKIP_1) | instid1(TRANS32_DEP_1)
	v_rcp_f32_e32 v10, v8
	v_nop
	v_fma_f32 v11, -v8, v10, 1.0
	s_delay_alu instid0(VALU_DEP_1) | instskip(NEXT) | instid1(VALU_DEP_1)
	v_fmac_f32_e32 v10, v11, v10
	v_mul_f32_e32 v11, v14, v10
	s_delay_alu instid0(VALU_DEP_1) | instskip(NEXT) | instid1(VALU_DEP_1)
	v_fma_f32 v15, -v8, v11, v14
	v_fmac_f32_e32 v11, v15, v10
	s_delay_alu instid0(VALU_DEP_1) | instskip(NEXT) | instid1(VALU_DEP_1)
	v_fma_f32 v8, -v8, v11, v14
	v_div_fmas_f32 v8, v8, v10, v11
	s_delay_alu instid0(VALU_DEP_1) | instskip(SKIP_1) | instid1(VALU_DEP_2)
	v_div_fixup_f32 v5, v8, v13, v5
	v_mov_b32_e32 v8, 0x800000
	v_minmax_num_f32 v5, v5, s5, 0xc3600000
	s_delay_alu instid0(VALU_DEP_1) | instskip(NEXT) | instid1(VALU_DEP_1)
	v_and_b32_e32 v10, 0x7fffffff, v5
	v_cmpx_gt_u32_e32 0x43800000, v10
	s_cbranch_execz .LBB7_145
; %bb.140:                              ;   in Loop: Header=BB7_77 Depth=1
	v_cmp_lt_u32_e32 vcc_lo, 0x3bffffff, v10
	s_mov_b32 s12, 0
                                        ; implicit-def: $vgpr10
	s_and_saveexec_b32 s13, vcc_lo
	s_delay_alu instid0(SALU_CYCLE_1)
	s_xor_b32 s13, exec_lo, s13
	s_cbranch_execnz .LBB7_194
; %bb.141:                              ;   in Loop: Header=BB7_77 Depth=1
	s_and_not1_saveexec_b32 s13, s13
	s_cbranch_execnz .LBB7_195
.LBB7_142:                              ;   in Loop: Header=BB7_77 Depth=1
	s_or_b32 exec_lo, exec_lo, s13
	v_mov_b32_e32 v8, 0
	s_and_saveexec_b32 s13, s12
.LBB7_143:                              ;   in Loop: Header=BB7_77 Depth=1
	v_lshrrev_b32_e32 v5, 24, v5
	s_delay_alu instid0(VALU_DEP_1) | instskip(NEXT) | instid1(VALU_DEP_1)
	v_and_or_b32 v5, 0x80, v5, v10
	v_lshlrev_b32_e32 v8, 16, v5
.LBB7_144:                              ;   in Loop: Header=BB7_77 Depth=1
	s_or_b32 exec_lo, exec_lo, s13
.LBB7_145:                              ;   in Loop: Header=BB7_77 Depth=1
	s_delay_alu instid0(SALU_CYCLE_1) | instskip(SKIP_3) | instid1(VALU_DEP_1)
	s_or_b32 exec_lo, exec_lo, s9
	v_lshrrev_b32_e32 v5, 16, v7
	v_fma_mixlo_f16 v7, v12, v9, 0
	s_mov_b32 s9, exec_lo
	v_mul_f16_e32 v5, v5, v7
	s_delay_alu instid0(VALU_DEP_1) | instskip(NEXT) | instid1(VALU_DEP_1)
	v_cvt_f32_f16_e32 v5, v5
	v_div_scale_f32 v7, null, v13, v13, v5
	v_div_scale_f32 v11, vcc_lo, v5, v13, v5
	s_delay_alu instid0(VALU_DEP_2) | instskip(SKIP_1) | instid1(TRANS32_DEP_1)
	v_rcp_f32_e32 v9, v7
	v_nop
	v_fma_f32 v10, -v7, v9, 1.0
	s_delay_alu instid0(VALU_DEP_1) | instskip(NEXT) | instid1(VALU_DEP_1)
	v_fmac_f32_e32 v9, v10, v9
	v_mul_f32_e32 v10, v11, v9
	s_delay_alu instid0(VALU_DEP_1) | instskip(NEXT) | instid1(VALU_DEP_1)
	v_fma_f32 v14, -v7, v10, v11
	v_fmac_f32_e32 v10, v14, v9
	s_delay_alu instid0(VALU_DEP_1) | instskip(NEXT) | instid1(VALU_DEP_1)
	v_fma_f32 v7, -v7, v10, v11
	v_div_fmas_f32 v7, v7, v9, v10
	v_bfrev_b32_e32 v9, 1
	s_delay_alu instid0(VALU_DEP_2) | instskip(NEXT) | instid1(VALU_DEP_1)
	v_div_fixup_f32 v5, v7, v13, v5
	v_minmax_num_f32 v5, v5, s5, 0xc3600000
	s_delay_alu instid0(VALU_DEP_1) | instskip(NEXT) | instid1(VALU_DEP_1)
	v_and_b32_e32 v7, 0x7fffffff, v5
	v_cmpx_gt_u32_e32 0x43800000, v7
	s_cbranch_execz .LBB7_151
; %bb.146:                              ;   in Loop: Header=BB7_77 Depth=1
	v_cmp_lt_u32_e32 vcc_lo, 0x3bffffff, v7
	s_mov_b32 s12, 0
                                        ; implicit-def: $vgpr7
	s_and_saveexec_b32 s13, vcc_lo
	s_delay_alu instid0(SALU_CYCLE_1)
	s_xor_b32 s13, exec_lo, s13
	s_cbranch_execnz .LBB7_196
; %bb.147:                              ;   in Loop: Header=BB7_77 Depth=1
	s_and_not1_saveexec_b32 s13, s13
	s_cbranch_execnz .LBB7_197
.LBB7_148:                              ;   in Loop: Header=BB7_77 Depth=1
	s_or_b32 exec_lo, exec_lo, s13
	v_mov_b32_e32 v9, 0
	s_and_saveexec_b32 s13, s12
.LBB7_149:                              ;   in Loop: Header=BB7_77 Depth=1
	v_and_b32_e32 v5, 0x80000000, v5
	s_delay_alu instid0(VALU_DEP_1)
	v_lshl_or_b32 v9, v7, 24, v5
.LBB7_150:                              ;   in Loop: Header=BB7_77 Depth=1
	s_or_b32 exec_lo, exec_lo, s13
.LBB7_151:                              ;   in Loop: Header=BB7_77 Depth=1
	s_delay_alu instid0(SALU_CYCLE_1) | instskip(SKIP_4) | instid1(VALU_DEP_2)
	s_or_b32 exec_lo, exec_lo, s9
	v_dual_mov_b32 v5, v1 :: v_dual_bitop2_b32 v3, v6, v3 bitop3:0x54
	v_add_nc_u32_e32 v0, s3, v0
	s_mov_b32 s12, -1
	s_mov_b32 s9, exec_lo
	v_lshl_add_u64 v[4:5], v[4:5], 2, s[0:1]
	v_or3_b32 v3, v3, v8, v9
	global_store_b32 v[4:5], v3, off
	s_wait_xcnt 0x0
	v_cmpx_gt_u32_e64 s33, v0
	s_cbranch_execz .LBB7_74
; %bb.152:                              ;   in Loop: Header=BB7_77 Depth=1
	s_clause 0x2
	global_load_b64 v[6:7], v0, s[10:11] scale_offset
	global_load_b64 v[10:11], v0, s[16:17] scale_offset
	global_load_b64 v[4:5], v0, s[18:19] scale_offset
	s_mov_b32 s12, exec_lo
	s_wait_loadcnt 0x2
	v_lshrrev_b32_e32 v3, 16, v6
	s_wait_loadcnt 0x1
	v_lshrrev_b32_e32 v15, 16, v10
	v_cvt_f32_f16_e32 v8, v6
	v_cvt_f32_f16_e32 v14, v10
	;; [unrolled: 1-line block ×3, first 2 shown]
	s_delay_alu instid0(VALU_DEP_4) | instskip(NEXT) | instid1(VALU_DEP_1)
	v_cvt_f32_f16_e32 v15, v15
	v_pk_add_f32 v[8:9], v[8:9], v[14:15]
	s_delay_alu instid0(VALU_DEP_1) | instskip(SKIP_1) | instid1(VALU_DEP_1)
	v_fma_mixlo_f16 v3, v12, v8, 0
	s_wait_loadcnt 0x0
	v_mul_f16_e32 v3, v4, v3
	s_delay_alu instid0(VALU_DEP_1) | instskip(NEXT) | instid1(VALU_DEP_1)
	v_cvt_f32_f16_e32 v3, v3
	v_div_scale_f32 v6, null, v13, v13, v3
	v_div_scale_f32 v15, vcc_lo, v3, v13, v3
	s_delay_alu instid0(VALU_DEP_2) | instskip(SKIP_1) | instid1(TRANS32_DEP_1)
	v_rcp_f32_e32 v10, v6
	v_nop
	v_fma_f32 v14, -v6, v10, 1.0
	s_delay_alu instid0(VALU_DEP_1) | instskip(NEXT) | instid1(VALU_DEP_1)
	v_fmac_f32_e32 v10, v14, v10
	v_mul_f32_e32 v14, v15, v10
	s_delay_alu instid0(VALU_DEP_1) | instskip(NEXT) | instid1(VALU_DEP_1)
	v_fma_f32 v16, -v6, v14, v15
	v_dual_fmac_f32 v14, v16, v10 :: v_dual_lshrrev_b32 v16, 16, v11
	s_delay_alu instid0(VALU_DEP_1) | instskip(NEXT) | instid1(VALU_DEP_1)
	v_dual_fma_f32 v6, -v6, v14, v15 :: v_dual_lshrrev_b32 v15, 16, v7
	v_div_fmas_f32 v10, v6, v10, v14
	v_cvt_f32_f16_e32 v6, v7
	v_cvt_f32_f16_e32 v14, v11
	s_delay_alu instid0(VALU_DEP_4) | instskip(SKIP_2) | instid1(VALU_DEP_2)
	v_cvt_f32_f16_e32 v7, v15
	v_cvt_f32_f16_e32 v15, v16
	v_div_fixup_f32 v3, v10, v13, v3
	v_pk_add_f32 v[6:7], v[6:7], v[14:15]
	s_delay_alu instid0(VALU_DEP_2) | instskip(SKIP_2) | instid1(VALU_DEP_4)
	v_minmax_num_f32 v10, v3, s5, 0xc3600000
	v_cvt_pk_f16_f32 v14, v8, v9
	v_mov_b32_e32 v3, 0x80
	v_cvt_pk_f16_f32 v15, v6, v7
	s_delay_alu instid0(VALU_DEP_4)
	v_and_b32_e32 v11, 0x7fffffff, v10
	global_store_b64 v0, v[14:15], s[16:17] scale_offset
	s_wait_xcnt 0x0
	v_cmpx_gt_u32_e32 0x43800000, v11
	s_cbranch_execz .LBB7_158
; %bb.153:                              ;   in Loop: Header=BB7_77 Depth=1
	s_mov_b32 s13, 0
	s_mov_b32 s14, exec_lo
                                        ; implicit-def: $vgpr8
	v_cmpx_lt_u32_e32 0x3bffffff, v11
	s_xor_b32 s14, exec_lo, s14
	s_cbranch_execnz .LBB7_198
; %bb.154:                              ;   in Loop: Header=BB7_77 Depth=1
	s_and_not1_saveexec_b32 s14, s14
	s_cbranch_execnz .LBB7_199
.LBB7_155:                              ;   in Loop: Header=BB7_77 Depth=1
	s_or_b32 exec_lo, exec_lo, s14
	v_mov_b32_e32 v3, 0
	s_and_saveexec_b32 s14, s13
.LBB7_156:                              ;   in Loop: Header=BB7_77 Depth=1
	v_lshrrev_b32_e32 v3, 24, v10
	s_delay_alu instid0(VALU_DEP_1)
	v_and_or_b32 v3, 0x80, v3, v8
.LBB7_157:                              ;   in Loop: Header=BB7_77 Depth=1
	s_or_b32 exec_lo, exec_lo, s14
.LBB7_158:                              ;   in Loop: Header=BB7_77 Depth=1
	s_delay_alu instid0(SALU_CYCLE_1) | instskip(SKIP_3) | instid1(VALU_DEP_1)
	s_or_b32 exec_lo, exec_lo, s12
	v_lshrrev_b32_e32 v4, 16, v4
	v_fma_mixlo_f16 v8, v12, v9, 0
	s_mov_b32 s12, exec_lo
	v_mul_f16_e32 v4, v4, v8
	s_delay_alu instid0(VALU_DEP_1) | instskip(NEXT) | instid1(VALU_DEP_1)
	v_cvt_f32_f16_e32 v4, v4
	v_div_scale_f32 v8, null, v13, v13, v4
	v_div_scale_f32 v11, vcc_lo, v4, v13, v4
	s_delay_alu instid0(VALU_DEP_2) | instskip(SKIP_1) | instid1(TRANS32_DEP_1)
	v_rcp_f32_e32 v9, v8
	v_nop
	v_fma_f32 v10, -v8, v9, 1.0
	s_delay_alu instid0(VALU_DEP_1) | instskip(NEXT) | instid1(VALU_DEP_1)
	v_fmac_f32_e32 v9, v10, v9
	v_mul_f32_e32 v10, v11, v9
	s_delay_alu instid0(VALU_DEP_1) | instskip(NEXT) | instid1(VALU_DEP_1)
	v_fma_f32 v14, -v8, v10, v11
	v_fmac_f32_e32 v10, v14, v9
	s_delay_alu instid0(VALU_DEP_1) | instskip(NEXT) | instid1(VALU_DEP_1)
	v_fma_f32 v8, -v8, v10, v11
	v_div_fmas_f32 v8, v8, v9, v10
	s_delay_alu instid0(VALU_DEP_1) | instskip(NEXT) | instid1(VALU_DEP_1)
	v_div_fixup_f32 v4, v8, v13, v4
	v_minmax_num_f32 v8, v4, s5, 0xc3600000
	v_mov_b32_e32 v4, 0x8000
	s_delay_alu instid0(VALU_DEP_2) | instskip(NEXT) | instid1(VALU_DEP_1)
	v_and_b32_e32 v9, 0x7fffffff, v8
	v_cmpx_gt_u32_e32 0x43800000, v9
	s_cbranch_execz .LBB7_164
; %bb.159:                              ;   in Loop: Header=BB7_77 Depth=1
	v_cmp_lt_u32_e32 vcc_lo, 0x3bffffff, v9
	s_mov_b32 s13, 0
                                        ; implicit-def: $vgpr9
	s_and_saveexec_b32 s14, vcc_lo
	s_delay_alu instid0(SALU_CYCLE_1)
	s_xor_b32 s14, exec_lo, s14
	s_cbranch_execnz .LBB7_200
; %bb.160:                              ;   in Loop: Header=BB7_77 Depth=1
	s_and_not1_saveexec_b32 s14, s14
	s_cbranch_execnz .LBB7_201
.LBB7_161:                              ;   in Loop: Header=BB7_77 Depth=1
	s_or_b32 exec_lo, exec_lo, s14
	v_mov_b32_e32 v4, 0
	s_and_saveexec_b32 s14, s13
.LBB7_162:                              ;   in Loop: Header=BB7_77 Depth=1
	v_lshrrev_b32_e32 v4, 24, v8
	s_delay_alu instid0(VALU_DEP_1) | instskip(NEXT) | instid1(VALU_DEP_1)
	v_and_or_b32 v4, 0x80, v4, v9
	v_lshlrev_b32_e32 v4, 8, v4
.LBB7_163:                              ;   in Loop: Header=BB7_77 Depth=1
	s_or_b32 exec_lo, exec_lo, s14
.LBB7_164:                              ;   in Loop: Header=BB7_77 Depth=1
	s_delay_alu instid0(SALU_CYCLE_1) | instskip(SKIP_2) | instid1(VALU_DEP_1)
	s_or_b32 exec_lo, exec_lo, s12
	v_fma_mixlo_f16 v6, v12, v6, 0
	s_mov_b32 s12, exec_lo
	v_mul_f16_e32 v6, v5, v6
	s_delay_alu instid0(VALU_DEP_1) | instskip(NEXT) | instid1(VALU_DEP_1)
	v_cvt_f32_f16_e32 v6, v6
	v_div_scale_f32 v8, null, v13, v13, v6
	v_div_scale_f32 v11, vcc_lo, v6, v13, v6
	s_delay_alu instid0(VALU_DEP_2) | instskip(SKIP_1) | instid1(TRANS32_DEP_1)
	v_rcp_f32_e32 v9, v8
	v_nop
	v_fma_f32 v10, -v8, v9, 1.0
	s_delay_alu instid0(VALU_DEP_1) | instskip(NEXT) | instid1(VALU_DEP_1)
	v_fmac_f32_e32 v9, v10, v9
	v_mul_f32_e32 v10, v11, v9
	s_delay_alu instid0(VALU_DEP_1) | instskip(NEXT) | instid1(VALU_DEP_1)
	v_fma_f32 v14, -v8, v10, v11
	v_fmac_f32_e32 v10, v14, v9
	s_delay_alu instid0(VALU_DEP_1) | instskip(NEXT) | instid1(VALU_DEP_1)
	v_fma_f32 v8, -v8, v10, v11
	v_div_fmas_f32 v8, v8, v9, v10
	s_delay_alu instid0(VALU_DEP_1) | instskip(NEXT) | instid1(VALU_DEP_1)
	v_div_fixup_f32 v6, v8, v13, v6
	v_minmax_num_f32 v8, v6, s5, 0xc3600000
	v_mov_b32_e32 v6, 0x800000
	s_delay_alu instid0(VALU_DEP_2) | instskip(NEXT) | instid1(VALU_DEP_1)
	v_and_b32_e32 v9, 0x7fffffff, v8
	v_cmpx_gt_u32_e32 0x43800000, v9
	s_cbranch_execz .LBB7_170
; %bb.165:                              ;   in Loop: Header=BB7_77 Depth=1
	v_cmp_lt_u32_e32 vcc_lo, 0x3bffffff, v9
	s_mov_b32 s13, 0
                                        ; implicit-def: $vgpr9
	s_and_saveexec_b32 s14, vcc_lo
	s_delay_alu instid0(SALU_CYCLE_1)
	s_xor_b32 s14, exec_lo, s14
	s_cbranch_execnz .LBB7_202
; %bb.166:                              ;   in Loop: Header=BB7_77 Depth=1
	s_and_not1_saveexec_b32 s14, s14
	s_cbranch_execnz .LBB7_203
.LBB7_167:                              ;   in Loop: Header=BB7_77 Depth=1
	s_or_b32 exec_lo, exec_lo, s14
	v_mov_b32_e32 v6, 0
	s_and_saveexec_b32 s14, s13
.LBB7_168:                              ;   in Loop: Header=BB7_77 Depth=1
	v_lshrrev_b32_e32 v6, 24, v8
	s_delay_alu instid0(VALU_DEP_1) | instskip(NEXT) | instid1(VALU_DEP_1)
	v_and_or_b32 v6, 0x80, v6, v9
	v_lshlrev_b32_e32 v6, 16, v6
.LBB7_169:                              ;   in Loop: Header=BB7_77 Depth=1
	s_or_b32 exec_lo, exec_lo, s14
.LBB7_170:                              ;   in Loop: Header=BB7_77 Depth=1
	s_delay_alu instid0(SALU_CYCLE_1) | instskip(SKIP_3) | instid1(VALU_DEP_1)
	s_or_b32 exec_lo, exec_lo, s12
	v_lshrrev_b32_e32 v5, 16, v5
	v_fma_mixlo_f16 v7, v12, v7, 0
	s_mov_b32 s12, exec_lo
	v_mul_f16_e32 v5, v5, v7
	s_delay_alu instid0(VALU_DEP_1) | instskip(NEXT) | instid1(VALU_DEP_1)
	v_cvt_f32_f16_e32 v5, v5
	v_div_scale_f32 v7, null, v13, v13, v5
	v_div_scale_f32 v10, vcc_lo, v5, v13, v5
	s_delay_alu instid0(VALU_DEP_2) | instskip(SKIP_1) | instid1(TRANS32_DEP_1)
	v_rcp_f32_e32 v8, v7
	v_nop
	v_fma_f32 v9, -v7, v8, 1.0
	s_delay_alu instid0(VALU_DEP_1) | instskip(NEXT) | instid1(VALU_DEP_1)
	v_fmac_f32_e32 v8, v9, v8
	v_mul_f32_e32 v9, v10, v8
	s_delay_alu instid0(VALU_DEP_1) | instskip(NEXT) | instid1(VALU_DEP_1)
	v_fma_f32 v11, -v7, v9, v10
	v_fmac_f32_e32 v9, v11, v8
	s_delay_alu instid0(VALU_DEP_1) | instskip(NEXT) | instid1(VALU_DEP_1)
	v_fma_f32 v7, -v7, v9, v10
	v_div_fmas_f32 v7, v7, v8, v9
	v_bfrev_b32_e32 v8, 1
	s_delay_alu instid0(VALU_DEP_2) | instskip(NEXT) | instid1(VALU_DEP_1)
	v_div_fixup_f32 v5, v7, v13, v5
	v_minmax_num_f32 v5, v5, s5, 0xc3600000
	s_delay_alu instid0(VALU_DEP_1) | instskip(NEXT) | instid1(VALU_DEP_1)
	v_and_b32_e32 v7, 0x7fffffff, v5
	v_cmpx_gt_u32_e32 0x43800000, v7
	s_cbranch_execz .LBB7_73
; %bb.171:                              ;   in Loop: Header=BB7_77 Depth=1
	v_cmp_lt_u32_e32 vcc_lo, 0x3bffffff, v7
	s_mov_b32 s13, 0
                                        ; implicit-def: $vgpr7
	s_and_saveexec_b32 s14, vcc_lo
	s_delay_alu instid0(SALU_CYCLE_1)
	s_xor_b32 s14, exec_lo, s14
	s_cbranch_execnz .LBB7_204
; %bb.172:                              ;   in Loop: Header=BB7_77 Depth=1
	s_and_not1_saveexec_b32 s14, s14
	s_cbranch_execnz .LBB7_205
.LBB7_173:                              ;   in Loop: Header=BB7_77 Depth=1
	s_or_b32 exec_lo, exec_lo, s14
	v_mov_b32_e32 v8, 0
	s_and_saveexec_b32 s14, s13
	s_cbranch_execz .LBB7_72
	s_branch .LBB7_206
.LBB7_174:                              ;   in Loop: Header=BB7_77 Depth=1
	v_bfe_u32 v6, v8, 20, 1
	s_mov_b32 s8, exec_lo
	s_delay_alu instid0(VALU_DEP_1) | instskip(NEXT) | instid1(VALU_DEP_1)
	v_add3_u32 v6, v8, v6, 0x487ffff
	v_bfe_u32 v9, v6, 20, 8
	s_and_not1_saveexec_b32 s9, s9
	s_cbranch_execz .LBB7_80
.LBB7_175:                              ;   in Loop: Header=BB7_77 Depth=1
	v_add_f32_e64 v6, 0x46000000, |v8|
	s_and_not1_b32 s8, s8, exec_lo
	s_delay_alu instid0(VALU_DEP_1) | instskip(NEXT) | instid1(VALU_DEP_1)
	v_and_b32_e32 v9, 0xff, v6
	v_cmp_ne_u32_e32 vcc_lo, 0, v9
	s_and_b32 s12, vcc_lo, exec_lo
	s_delay_alu instid0(SALU_CYCLE_1)
	s_or_b32 s8, s8, s12
	s_or_b32 exec_lo, exec_lo, s9
	v_mov_b32_e32 v6, 0
	s_and_saveexec_b32 s9, s8
	s_cbranch_execnz .LBB7_81
	s_branch .LBB7_82
.LBB7_176:                              ;   in Loop: Header=BB7_77 Depth=1
	v_bfe_u32 v2, v7, 20, 1
	s_mov_b32 s8, exec_lo
	s_delay_alu instid0(VALU_DEP_1) | instskip(NEXT) | instid1(VALU_DEP_1)
	v_add3_u32 v2, v7, v2, 0x487ffff
	v_bfe_u32 v8, v2, 20, 8
	s_and_not1_saveexec_b32 s9, s9
	s_cbranch_execz .LBB7_86
.LBB7_177:                              ;   in Loop: Header=BB7_77 Depth=1
	v_add_f32_e64 v2, 0x46000000, |v7|
	s_and_not1_b32 s8, s8, exec_lo
	s_delay_alu instid0(VALU_DEP_1) | instskip(NEXT) | instid1(VALU_DEP_1)
	v_and_b32_e32 v8, 0xff, v2
	v_cmp_ne_u32_e32 vcc_lo, 0, v8
	s_and_b32 s12, vcc_lo, exec_lo
	s_delay_alu instid0(SALU_CYCLE_1)
	s_or_b32 s8, s8, s12
	s_or_b32 exec_lo, exec_lo, s9
	v_mov_b32_e32 v2, 0
	s_and_saveexec_b32 s9, s8
	s_cbranch_execnz .LBB7_87
	s_branch .LBB7_88
.LBB7_178:                              ;   in Loop: Header=BB7_77 Depth=1
	v_bfe_u32 v4, v7, 20, 1
	s_mov_b32 s8, exec_lo
	s_delay_alu instid0(VALU_DEP_1) | instskip(NEXT) | instid1(VALU_DEP_1)
	v_add3_u32 v4, v7, v4, 0x487ffff
	v_bfe_u32 v8, v4, 20, 8
	s_and_not1_saveexec_b32 s9, s9
	s_cbranch_execz .LBB7_92
.LBB7_179:                              ;   in Loop: Header=BB7_77 Depth=1
	v_add_f32_e64 v4, 0x46000000, |v7|
	s_and_not1_b32 s8, s8, exec_lo
	s_delay_alu instid0(VALU_DEP_1) | instskip(NEXT) | instid1(VALU_DEP_1)
	v_and_b32_e32 v8, 0xff, v4
	v_cmp_ne_u32_e32 vcc_lo, 0, v8
	s_and_b32 s12, vcc_lo, exec_lo
	s_delay_alu instid0(SALU_CYCLE_1)
	s_or_b32 s8, s8, s12
	s_or_b32 exec_lo, exec_lo, s9
	v_mov_b32_e32 v4, 0
	s_and_saveexec_b32 s9, s8
	s_cbranch_execnz .LBB7_93
	s_branch .LBB7_94
.LBB7_180:                              ;   in Loop: Header=BB7_77 Depth=1
	v_bfe_u32 v5, v3, 20, 1
	s_mov_b32 s8, exec_lo
	s_delay_alu instid0(VALU_DEP_1) | instskip(NEXT) | instid1(VALU_DEP_1)
	v_add3_u32 v5, v3, v5, 0x487ffff
	v_bfe_u32 v5, v5, 20, 8
	s_and_not1_saveexec_b32 s9, s9
	s_cbranch_execz .LBB7_98
.LBB7_181:                              ;   in Loop: Header=BB7_77 Depth=1
	v_add_f32_e64 v5, 0x46000000, |v3|
	s_and_not1_b32 s8, s8, exec_lo
	s_delay_alu instid0(VALU_DEP_1) | instskip(NEXT) | instid1(VALU_DEP_1)
	v_and_b32_e32 v5, 0xff, v5
	v_cmp_ne_u32_e32 vcc_lo, 0, v5
	s_and_b32 s12, vcc_lo, exec_lo
	s_delay_alu instid0(SALU_CYCLE_1)
	s_or_b32 s8, s8, s12
	s_or_b32 exec_lo, exec_lo, s9
	v_mov_b32_e32 v7, 0
	s_and_saveexec_b32 s9, s8
	s_cbranch_execnz .LBB7_99
	s_branch .LBB7_100
.LBB7_182:                              ;   in Loop: Header=BB7_77 Depth=1
	v_bfe_u32 v8, v3, 20, 1
	s_mov_b32 s9, exec_lo
	s_delay_alu instid0(VALU_DEP_1) | instskip(NEXT) | instid1(VALU_DEP_1)
	v_add3_u32 v8, v3, v8, 0x487ffff
	v_bfe_u32 v10, v8, 20, 8
	s_and_not1_saveexec_b32 s12, s12
	s_cbranch_execz .LBB7_105
.LBB7_183:                              ;   in Loop: Header=BB7_77 Depth=1
	v_add_f32_e64 v8, 0x46000000, |v3|
	s_and_not1_b32 s9, s9, exec_lo
	s_delay_alu instid0(VALU_DEP_1) | instskip(NEXT) | instid1(VALU_DEP_1)
	v_and_b32_e32 v10, 0xff, v8
	v_cmp_ne_u32_e32 vcc_lo, 0, v10
	s_and_b32 s13, vcc_lo, exec_lo
	s_delay_alu instid0(SALU_CYCLE_1)
	s_or_b32 s9, s9, s13
	s_or_b32 exec_lo, exec_lo, s12
	v_mov_b32_e32 v8, 0
	s_and_saveexec_b32 s12, s9
	s_cbranch_execnz .LBB7_106
	s_branch .LBB7_107
.LBB7_184:                              ;   in Loop: Header=BB7_77 Depth=1
	v_bfe_u32 v4, v3, 20, 1
	s_mov_b32 s9, exec_lo
	s_delay_alu instid0(VALU_DEP_1) | instskip(NEXT) | instid1(VALU_DEP_1)
	v_add3_u32 v4, v3, v4, 0x487ffff
	v_bfe_u32 v9, v4, 20, 8
	s_and_not1_saveexec_b32 s12, s12
	s_cbranch_execz .LBB7_111
.LBB7_185:                              ;   in Loop: Header=BB7_77 Depth=1
	v_add_f32_e64 v4, 0x46000000, |v3|
	s_and_not1_b32 s9, s9, exec_lo
	s_delay_alu instid0(VALU_DEP_1) | instskip(NEXT) | instid1(VALU_DEP_1)
	v_and_b32_e32 v9, 0xff, v4
	v_cmp_ne_u32_e32 vcc_lo, 0, v9
	s_and_b32 s13, vcc_lo, exec_lo
	s_delay_alu instid0(SALU_CYCLE_1)
	s_or_b32 s9, s9, s13
	s_or_b32 exec_lo, exec_lo, s12
	v_mov_b32_e32 v4, 0
	s_and_saveexec_b32 s12, s9
	s_cbranch_execnz .LBB7_112
	s_branch .LBB7_113
.LBB7_186:                              ;   in Loop: Header=BB7_77 Depth=1
	v_bfe_u32 v6, v3, 20, 1
	s_mov_b32 s9, exec_lo
	s_delay_alu instid0(VALU_DEP_1) | instskip(NEXT) | instid1(VALU_DEP_1)
	v_add3_u32 v6, v3, v6, 0x487ffff
	v_bfe_u32 v9, v6, 20, 8
	s_and_not1_saveexec_b32 s12, s12
	s_cbranch_execz .LBB7_117
.LBB7_187:                              ;   in Loop: Header=BB7_77 Depth=1
	v_add_f32_e64 v6, 0x46000000, |v3|
	s_and_not1_b32 s9, s9, exec_lo
	s_delay_alu instid0(VALU_DEP_1) | instskip(NEXT) | instid1(VALU_DEP_1)
	v_and_b32_e32 v9, 0xff, v6
	v_cmp_ne_u32_e32 vcc_lo, 0, v9
	s_and_b32 s13, vcc_lo, exec_lo
	s_delay_alu instid0(SALU_CYCLE_1)
	s_or_b32 s9, s9, s13
	s_or_b32 exec_lo, exec_lo, s12
	v_mov_b32_e32 v6, 0
	s_and_saveexec_b32 s12, s9
	s_cbranch_execnz .LBB7_118
	s_branch .LBB7_119
.LBB7_188:                              ;   in Loop: Header=BB7_77 Depth=1
	v_bfe_u32 v5, v3, 20, 1
	s_mov_b32 s9, exec_lo
	s_delay_alu instid0(VALU_DEP_1) | instskip(NEXT) | instid1(VALU_DEP_1)
	v_add3_u32 v5, v3, v5, 0x487ffff
	v_bfe_u32 v5, v5, 20, 8
	s_and_not1_saveexec_b32 s12, s12
	s_cbranch_execz .LBB7_123
.LBB7_189:                              ;   in Loop: Header=BB7_77 Depth=1
	v_add_f32_e64 v5, 0x46000000, |v3|
	s_and_not1_b32 s9, s9, exec_lo
	s_delay_alu instid0(VALU_DEP_1) | instskip(NEXT) | instid1(VALU_DEP_1)
	v_and_b32_e32 v5, 0xff, v5
	v_cmp_ne_u32_e32 vcc_lo, 0, v5
	s_and_b32 s13, vcc_lo, exec_lo
	s_delay_alu instid0(SALU_CYCLE_1)
	s_or_b32 s9, s9, s13
	s_or_b32 exec_lo, exec_lo, s12
	v_mov_b32_e32 v7, 0
	s_and_saveexec_b32 s12, s9
	s_cbranch_execnz .LBB7_124
	s_branch .LBB7_125
.LBB7_190:                              ;   in Loop: Header=BB7_77 Depth=1
	v_bfe_u32 v3, v5, 20, 1
	s_mov_b32 s12, exec_lo
	s_delay_alu instid0(VALU_DEP_1) | instskip(NEXT) | instid1(VALU_DEP_1)
	v_add3_u32 v3, v5, v3, 0x487ffff
	v_bfe_u32 v10, v3, 20, 8
	s_and_not1_saveexec_b32 s13, s13
	s_cbranch_execz .LBB7_130
.LBB7_191:                              ;   in Loop: Header=BB7_77 Depth=1
	v_add_f32_e64 v3, 0x46000000, |v5|
	s_and_not1_b32 s12, s12, exec_lo
	s_delay_alu instid0(VALU_DEP_1) | instskip(NEXT) | instid1(VALU_DEP_1)
	v_and_b32_e32 v10, 0xff, v3
	v_cmp_ne_u32_e32 vcc_lo, 0, v10
	s_and_b32 s14, vcc_lo, exec_lo
	s_delay_alu instid0(SALU_CYCLE_1)
	s_or_b32 s12, s12, s14
	s_or_b32 exec_lo, exec_lo, s13
	v_mov_b32_e32 v3, 0
	s_and_saveexec_b32 s13, s12
	s_cbranch_execnz .LBB7_131
	s_branch .LBB7_132
.LBB7_192:                              ;   in Loop: Header=BB7_77 Depth=1
	v_bfe_u32 v6, v5, 20, 1
	s_mov_b32 s12, exec_lo
	s_delay_alu instid0(VALU_DEP_1) | instskip(NEXT) | instid1(VALU_DEP_1)
	v_add3_u32 v6, v5, v6, 0x487ffff
	v_bfe_u32 v10, v6, 20, 8
	s_and_not1_saveexec_b32 s13, s13
	s_cbranch_execz .LBB7_136
.LBB7_193:                              ;   in Loop: Header=BB7_77 Depth=1
	v_add_f32_e64 v6, 0x46000000, |v5|
	s_and_not1_b32 s12, s12, exec_lo
	s_delay_alu instid0(VALU_DEP_1) | instskip(NEXT) | instid1(VALU_DEP_1)
	v_and_b32_e32 v10, 0xff, v6
	v_cmp_ne_u32_e32 vcc_lo, 0, v10
	s_and_b32 s14, vcc_lo, exec_lo
	s_delay_alu instid0(SALU_CYCLE_1)
	s_or_b32 s12, s12, s14
	s_or_b32 exec_lo, exec_lo, s13
	v_mov_b32_e32 v6, 0
	s_and_saveexec_b32 s13, s12
	s_cbranch_execnz .LBB7_137
	s_branch .LBB7_138
.LBB7_194:                              ;   in Loop: Header=BB7_77 Depth=1
	v_bfe_u32 v8, v5, 20, 1
	s_mov_b32 s12, exec_lo
	s_delay_alu instid0(VALU_DEP_1) | instskip(NEXT) | instid1(VALU_DEP_1)
	v_add3_u32 v8, v5, v8, 0x487ffff
	v_bfe_u32 v10, v8, 20, 8
	s_and_not1_saveexec_b32 s13, s13
	s_cbranch_execz .LBB7_142
.LBB7_195:                              ;   in Loop: Header=BB7_77 Depth=1
	v_add_f32_e64 v8, 0x46000000, |v5|
	s_and_not1_b32 s12, s12, exec_lo
	s_delay_alu instid0(VALU_DEP_1) | instskip(NEXT) | instid1(VALU_DEP_1)
	v_and_b32_e32 v10, 0xff, v8
	v_cmp_ne_u32_e32 vcc_lo, 0, v10
	s_and_b32 s14, vcc_lo, exec_lo
	s_delay_alu instid0(SALU_CYCLE_1)
	s_or_b32 s12, s12, s14
	s_or_b32 exec_lo, exec_lo, s13
	v_mov_b32_e32 v8, 0
	s_and_saveexec_b32 s13, s12
	s_cbranch_execnz .LBB7_143
	s_branch .LBB7_144
.LBB7_196:                              ;   in Loop: Header=BB7_77 Depth=1
	v_bfe_u32 v7, v5, 20, 1
	s_mov_b32 s12, exec_lo
	s_delay_alu instid0(VALU_DEP_1) | instskip(NEXT) | instid1(VALU_DEP_1)
	v_add3_u32 v7, v5, v7, 0x487ffff
	v_bfe_u32 v7, v7, 20, 8
	s_and_not1_saveexec_b32 s13, s13
	s_cbranch_execz .LBB7_148
.LBB7_197:                              ;   in Loop: Header=BB7_77 Depth=1
	v_add_f32_e64 v7, 0x46000000, |v5|
	s_and_not1_b32 s12, s12, exec_lo
	s_delay_alu instid0(VALU_DEP_1) | instskip(NEXT) | instid1(VALU_DEP_1)
	v_and_b32_e32 v7, 0xff, v7
	v_cmp_ne_u32_e32 vcc_lo, 0, v7
	s_and_b32 s14, vcc_lo, exec_lo
	s_delay_alu instid0(SALU_CYCLE_1)
	s_or_b32 s12, s12, s14
	s_or_b32 exec_lo, exec_lo, s13
	v_mov_b32_e32 v9, 0
	s_and_saveexec_b32 s13, s12
	s_cbranch_execnz .LBB7_149
	s_branch .LBB7_150
.LBB7_198:                              ;   in Loop: Header=BB7_77 Depth=1
	v_bfe_u32 v3, v10, 20, 1
	s_mov_b32 s13, exec_lo
	s_delay_alu instid0(VALU_DEP_1) | instskip(NEXT) | instid1(VALU_DEP_1)
	v_add3_u32 v3, v10, v3, 0x487ffff
	v_bfe_u32 v8, v3, 20, 8
	s_and_not1_saveexec_b32 s14, s14
	s_cbranch_execz .LBB7_155
.LBB7_199:                              ;   in Loop: Header=BB7_77 Depth=1
	v_add_f32_e64 v3, 0x46000000, |v10|
	s_and_not1_b32 s13, s13, exec_lo
	s_delay_alu instid0(VALU_DEP_1) | instskip(NEXT) | instid1(VALU_DEP_1)
	v_and_b32_e32 v8, 0xff, v3
	v_cmp_ne_u32_e32 vcc_lo, 0, v8
	s_and_b32 s15, vcc_lo, exec_lo
	s_delay_alu instid0(SALU_CYCLE_1)
	s_or_b32 s13, s13, s15
	s_or_b32 exec_lo, exec_lo, s14
	v_mov_b32_e32 v3, 0
	s_and_saveexec_b32 s14, s13
	s_cbranch_execnz .LBB7_156
	s_branch .LBB7_157
.LBB7_200:                              ;   in Loop: Header=BB7_77 Depth=1
	v_bfe_u32 v4, v8, 20, 1
	s_mov_b32 s13, exec_lo
	s_delay_alu instid0(VALU_DEP_1) | instskip(NEXT) | instid1(VALU_DEP_1)
	v_add3_u32 v4, v8, v4, 0x487ffff
	v_bfe_u32 v9, v4, 20, 8
	s_and_not1_saveexec_b32 s14, s14
	s_cbranch_execz .LBB7_161
.LBB7_201:                              ;   in Loop: Header=BB7_77 Depth=1
	v_add_f32_e64 v4, 0x46000000, |v8|
	s_and_not1_b32 s13, s13, exec_lo
	s_delay_alu instid0(VALU_DEP_1) | instskip(NEXT) | instid1(VALU_DEP_1)
	v_and_b32_e32 v9, 0xff, v4
	v_cmp_ne_u32_e32 vcc_lo, 0, v9
	s_and_b32 s15, vcc_lo, exec_lo
	s_delay_alu instid0(SALU_CYCLE_1)
	s_or_b32 s13, s13, s15
	s_or_b32 exec_lo, exec_lo, s14
	v_mov_b32_e32 v4, 0
	s_and_saveexec_b32 s14, s13
	s_cbranch_execnz .LBB7_162
	s_branch .LBB7_163
.LBB7_202:                              ;   in Loop: Header=BB7_77 Depth=1
	v_bfe_u32 v6, v8, 20, 1
	s_mov_b32 s13, exec_lo
	s_delay_alu instid0(VALU_DEP_1) | instskip(NEXT) | instid1(VALU_DEP_1)
	v_add3_u32 v6, v8, v6, 0x487ffff
	v_bfe_u32 v9, v6, 20, 8
	s_and_not1_saveexec_b32 s14, s14
	s_cbranch_execz .LBB7_167
.LBB7_203:                              ;   in Loop: Header=BB7_77 Depth=1
	v_add_f32_e64 v6, 0x46000000, |v8|
	s_and_not1_b32 s13, s13, exec_lo
	s_delay_alu instid0(VALU_DEP_1) | instskip(NEXT) | instid1(VALU_DEP_1)
	v_and_b32_e32 v9, 0xff, v6
	v_cmp_ne_u32_e32 vcc_lo, 0, v9
	s_and_b32 s15, vcc_lo, exec_lo
	s_delay_alu instid0(SALU_CYCLE_1)
	s_or_b32 s13, s13, s15
	s_or_b32 exec_lo, exec_lo, s14
	v_mov_b32_e32 v6, 0
	s_and_saveexec_b32 s14, s13
	s_cbranch_execnz .LBB7_168
	s_branch .LBB7_169
.LBB7_204:                              ;   in Loop: Header=BB7_77 Depth=1
	v_bfe_u32 v7, v5, 20, 1
	s_mov_b32 s13, exec_lo
	s_delay_alu instid0(VALU_DEP_1) | instskip(NEXT) | instid1(VALU_DEP_1)
	v_add3_u32 v7, v5, v7, 0x487ffff
	v_bfe_u32 v7, v7, 20, 8
	s_and_not1_saveexec_b32 s14, s14
	s_cbranch_execz .LBB7_173
.LBB7_205:                              ;   in Loop: Header=BB7_77 Depth=1
	v_add_f32_e64 v7, 0x46000000, |v5|
	s_and_not1_b32 s13, s13, exec_lo
	s_delay_alu instid0(VALU_DEP_1) | instskip(NEXT) | instid1(VALU_DEP_1)
	v_and_b32_e32 v7, 0xff, v7
	v_cmp_ne_u32_e32 vcc_lo, 0, v7
	s_and_b32 s15, vcc_lo, exec_lo
	s_delay_alu instid0(SALU_CYCLE_1)
	s_or_b32 s13, s13, s15
	s_or_b32 exec_lo, exec_lo, s14
	v_mov_b32_e32 v8, 0
	s_and_saveexec_b32 s14, s13
	s_cbranch_execz .LBB7_72
.LBB7_206:                              ;   in Loop: Header=BB7_77 Depth=1
	v_and_b32_e32 v5, 0x80000000, v5
	s_delay_alu instid0(VALU_DEP_1)
	v_lshl_or_b32 v8, v7, 24, v5
	s_branch .LBB7_72
.LBB7_207:
	s_endpgm
	.section	.rodata,"a",@progbits
	.p2align	6, 0x0
	.amdhsa_kernel _ZN4vllm39rms_norm_dynamic_per_token_quant_kernelIN3c104HalfENS1_15Float8_e4m3fnuzELb1EEEvPT0_PfPKT_S9_PKffiPS7_
		.amdhsa_group_segment_fixed_size 272
		.amdhsa_private_segment_fixed_size 0
		.amdhsa_kernarg_size 312
		.amdhsa_user_sgpr_count 2
		.amdhsa_user_sgpr_dispatch_ptr 0
		.amdhsa_user_sgpr_queue_ptr 0
		.amdhsa_user_sgpr_kernarg_segment_ptr 1
		.amdhsa_user_sgpr_dispatch_id 0
		.amdhsa_user_sgpr_kernarg_preload_length 0
		.amdhsa_user_sgpr_kernarg_preload_offset 0
		.amdhsa_user_sgpr_private_segment_size 0
		.amdhsa_wavefront_size32 1
		.amdhsa_uses_dynamic_stack 0
		.amdhsa_enable_private_segment 0
		.amdhsa_system_sgpr_workgroup_id_x 1
		.amdhsa_system_sgpr_workgroup_id_y 0
		.amdhsa_system_sgpr_workgroup_id_z 0
		.amdhsa_system_sgpr_workgroup_info 0
		.amdhsa_system_vgpr_workitem_id 0
		.amdhsa_next_free_vgpr 22
		.amdhsa_next_free_sgpr 40
		.amdhsa_named_barrier_count 0
		.amdhsa_reserve_vcc 1
		.amdhsa_float_round_mode_32 0
		.amdhsa_float_round_mode_16_64 0
		.amdhsa_float_denorm_mode_32 3
		.amdhsa_float_denorm_mode_16_64 3
		.amdhsa_fp16_overflow 0
		.amdhsa_memory_ordered 1
		.amdhsa_forward_progress 1
		.amdhsa_inst_pref_size 105
		.amdhsa_round_robin_scheduling 0
		.amdhsa_exception_fp_ieee_invalid_op 0
		.amdhsa_exception_fp_denorm_src 0
		.amdhsa_exception_fp_ieee_div_zero 0
		.amdhsa_exception_fp_ieee_overflow 0
		.amdhsa_exception_fp_ieee_underflow 0
		.amdhsa_exception_fp_ieee_inexact 0
		.amdhsa_exception_int_div_zero 0
	.end_amdhsa_kernel
	.section	.text._ZN4vllm39rms_norm_dynamic_per_token_quant_kernelIN3c104HalfENS1_15Float8_e4m3fnuzELb1EEEvPT0_PfPKT_S9_PKffiPS7_,"axG",@progbits,_ZN4vllm39rms_norm_dynamic_per_token_quant_kernelIN3c104HalfENS1_15Float8_e4m3fnuzELb1EEEvPT0_PfPKT_S9_PKffiPS7_,comdat
.Lfunc_end7:
	.size	_ZN4vllm39rms_norm_dynamic_per_token_quant_kernelIN3c104HalfENS1_15Float8_e4m3fnuzELb1EEEvPT0_PfPKT_S9_PKffiPS7_, .Lfunc_end7-_ZN4vllm39rms_norm_dynamic_per_token_quant_kernelIN3c104HalfENS1_15Float8_e4m3fnuzELb1EEEvPT0_PfPKT_S9_PKffiPS7_
                                        ; -- End function
	.set _ZN4vllm39rms_norm_dynamic_per_token_quant_kernelIN3c104HalfENS1_15Float8_e4m3fnuzELb1EEEvPT0_PfPKT_S9_PKffiPS7_.num_vgpr, 22
	.set _ZN4vllm39rms_norm_dynamic_per_token_quant_kernelIN3c104HalfENS1_15Float8_e4m3fnuzELb1EEEvPT0_PfPKT_S9_PKffiPS7_.num_agpr, 0
	.set _ZN4vllm39rms_norm_dynamic_per_token_quant_kernelIN3c104HalfENS1_15Float8_e4m3fnuzELb1EEEvPT0_PfPKT_S9_PKffiPS7_.numbered_sgpr, 40
	.set _ZN4vllm39rms_norm_dynamic_per_token_quant_kernelIN3c104HalfENS1_15Float8_e4m3fnuzELb1EEEvPT0_PfPKT_S9_PKffiPS7_.num_named_barrier, 0
	.set _ZN4vllm39rms_norm_dynamic_per_token_quant_kernelIN3c104HalfENS1_15Float8_e4m3fnuzELb1EEEvPT0_PfPKT_S9_PKffiPS7_.private_seg_size, 0
	.set _ZN4vllm39rms_norm_dynamic_per_token_quant_kernelIN3c104HalfENS1_15Float8_e4m3fnuzELb1EEEvPT0_PfPKT_S9_PKffiPS7_.uses_vcc, 1
	.set _ZN4vllm39rms_norm_dynamic_per_token_quant_kernelIN3c104HalfENS1_15Float8_e4m3fnuzELb1EEEvPT0_PfPKT_S9_PKffiPS7_.uses_flat_scratch, 0
	.set _ZN4vllm39rms_norm_dynamic_per_token_quant_kernelIN3c104HalfENS1_15Float8_e4m3fnuzELb1EEEvPT0_PfPKT_S9_PKffiPS7_.has_dyn_sized_stack, 0
	.set _ZN4vllm39rms_norm_dynamic_per_token_quant_kernelIN3c104HalfENS1_15Float8_e4m3fnuzELb1EEEvPT0_PfPKT_S9_PKffiPS7_.has_recursion, 0
	.set _ZN4vllm39rms_norm_dynamic_per_token_quant_kernelIN3c104HalfENS1_15Float8_e4m3fnuzELb1EEEvPT0_PfPKT_S9_PKffiPS7_.has_indirect_call, 0
	.section	.AMDGPU.csdata,"",@progbits
; Kernel info:
; codeLenInByte = 13432
; TotalNumSgprs: 42
; NumVgprs: 22
; ScratchSize: 0
; MemoryBound: 0
; FloatMode: 240
; IeeeMode: 1
; LDSByteSize: 272 bytes/workgroup (compile time only)
; SGPRBlocks: 0
; VGPRBlocks: 1
; NumSGPRsForWavesPerEU: 42
; NumVGPRsForWavesPerEU: 22
; NamedBarCnt: 0
; Occupancy: 16
; WaveLimiterHint : 0
; COMPUTE_PGM_RSRC2:SCRATCH_EN: 0
; COMPUTE_PGM_RSRC2:USER_SGPR: 2
; COMPUTE_PGM_RSRC2:TRAP_HANDLER: 0
; COMPUTE_PGM_RSRC2:TGID_X_EN: 1
; COMPUTE_PGM_RSRC2:TGID_Y_EN: 0
; COMPUTE_PGM_RSRC2:TGID_Z_EN: 0
; COMPUTE_PGM_RSRC2:TIDIG_COMP_CNT: 0
	.section	.text._ZN4vllm39rms_norm_dynamic_per_token_quant_kernelIN3c104HalfEaLb1EEEvPT0_PfPKT_S8_PKffiPS6_,"axG",@progbits,_ZN4vllm39rms_norm_dynamic_per_token_quant_kernelIN3c104HalfEaLb1EEEvPT0_PfPKT_S8_PKffiPS6_,comdat
	.protected	_ZN4vllm39rms_norm_dynamic_per_token_quant_kernelIN3c104HalfEaLb1EEEvPT0_PfPKT_S8_PKffiPS6_ ; -- Begin function _ZN4vllm39rms_norm_dynamic_per_token_quant_kernelIN3c104HalfEaLb1EEEvPT0_PfPKT_S8_PKffiPS6_
	.globl	_ZN4vllm39rms_norm_dynamic_per_token_quant_kernelIN3c104HalfEaLb1EEEvPT0_PfPKT_S8_PKffiPS6_
	.p2align	8
	.type	_ZN4vllm39rms_norm_dynamic_per_token_quant_kernelIN3c104HalfEaLb1EEEvPT0_PfPKT_S8_PKffiPS6_,@function
_ZN4vllm39rms_norm_dynamic_per_token_quant_kernelIN3c104HalfEaLb1EEEvPT0_PfPKT_S8_PKffiPS6_: ; @_ZN4vllm39rms_norm_dynamic_per_token_quant_kernelIN3c104HalfEaLb1EEEvPT0_PfPKT_S8_PKffiPS6_
; %bb.0:
	s_clause 0x2
	s_load_b128 s[20:23], s[0:1], 0x20
	s_load_b256 s[12:19], s[0:1], 0x0
	s_load_b64 s[30:31], s[0:1], 0x30
	s_mov_b32 s27, 0
	s_getreg_b32 s33, hwreg(HW_REG_IB_STS2, 6, 4)
	s_add_nc_u64 s[28:29], s[0:1], 56
	s_wait_kmcnt 0x0
	s_and_b32 s2, s23, 3
	s_delay_alu instid0(SALU_CYCLE_1)
	s_cmp_lg_u32 s2, 0
	s_cbranch_scc0 .LBB8_27
; %bb.1:
	s_load_b32 s34, s[0:1], 0x38
	s_bfe_u32 s2, ttmp6, 0x4000c
	s_and_b32 s3, ttmp6, 15
	s_add_co_i32 s2, s2, 1
	v_mov_b32_e32 v4, 0
	s_mul_i32 s2, ttmp9, s2
	s_mov_b32 s4, s23
	s_add_co_i32 s3, s3, s2
	s_cmp_eq_u32 s33, 0
	v_cmp_gt_u32_e64 s2, s23, v0
	s_cselect_b32 s26, ttmp9, s3
	s_ashr_i32 s5, s23, 31
	s_delay_alu instid0(SALU_CYCLE_1)
	s_mul_u64 s[24:25], s[4:5], s[26:27]
	s_and_saveexec_b32 s3, s2
	s_cbranch_execz .LBB8_5
; %bb.2:
	s_wait_kmcnt 0x0
	s_cmp_lt_u32 s26, s34
	s_mov_b32 s5, 0
	s_cselect_b32 s4, 12, 18
	v_dual_mov_b32 v3, 0 :: v_dual_mov_b32 v4, 0
	s_add_nc_u64 s[6:7], s[28:29], s[4:5]
	v_mov_b32_e32 v2, v0
	s_load_u16 s4, s[6:7], 0x0
.LBB8_3:                                ; =>This Inner Loop Header: Depth=1
	s_delay_alu instid0(VALU_DEP_1) | instskip(NEXT) | instid1(VALU_DEP_1)
	v_add_nc_u64_e32 v[6:7], s[24:25], v[2:3]
	v_lshlrev_b64_e32 v[6:7], 1, v[6:7]
	s_delay_alu instid0(VALU_DEP_1)
	v_add_nc_u64_e32 v[8:9], s[16:17], v[6:7]
	v_add_nc_u64_e32 v[6:7], s[30:31], v[6:7]
	global_load_u16 v1, v[8:9], off
	global_load_u16 v5, v[6:7], off
	s_wait_loadcnt 0x1
	v_cvt_f32_f16_e32 v1, v1
	s_wait_loadcnt 0x0
	v_cvt_f32_f16_e32 v5, v5
	s_wait_kmcnt 0x0
	s_delay_alu instid0(VALU_DEP_1) | instskip(NEXT) | instid1(VALU_DEP_1)
	v_dual_add_f32 v1, v1, v5 :: v_dual_add_nc_u32 v2, s4, v2
	v_cmp_le_u32_e32 vcc_lo, s23, v2
	s_delay_alu instid0(VALU_DEP_2) | instskip(SKIP_1) | instid1(SALU_CYCLE_1)
	v_fmac_f32_e32 v4, v1, v1
	s_or_b32 s5, vcc_lo, s5
	s_and_not1_b32 exec_lo, exec_lo, s5
	s_cbranch_execnz .LBB8_3
; %bb.4:
	s_or_b32 exec_lo, exec_lo, s5
.LBB8_5:
	s_delay_alu instid0(SALU_CYCLE_1) | instskip(SKIP_3) | instid1(VALU_DEP_2)
	s_or_b32 exec_lo, exec_lo, s3
	v_mbcnt_lo_u32_b32 v1, -1, 0
	s_load_b32 s3, s[28:29], 0xc
	v_and_b32_e32 v3, 0x3c0, v0
	v_cmp_ne_u32_e32 vcc_lo, 63, v1
	v_cmp_eq_u32_e64 s8, 0, v1
	v_dual_add_nc_u32 v5, 1, v1 :: v_dual_lshlrev_b32 v8, 2, v1
	v_add_co_ci_u32_e64 v2, null, 0, v1, vcc_lo
	v_cmp_gt_u32_e32 vcc_lo, 62, v1
	s_delay_alu instid0(VALU_DEP_2)
	v_lshlrev_b32_e32 v7, 2, v2
	v_cndmask_b32_e64 v6, 0, 2, vcc_lo
	v_cmp_gt_u32_e32 vcc_lo, 60, v1
	ds_bpermute_b32 v2, v7, v4
	s_wait_kmcnt 0x0
	s_and_b32 s36, s3, 0xffff
	v_add_lshl_u32 v9, v6, v1, 2
	v_sub_nc_u32_e64 v3, s36, v3 clamp
	v_add_nc_u32_e32 v6, 2, v1
	s_delay_alu instid0(VALU_DEP_2) | instskip(NEXT) | instid1(VALU_DEP_2)
	v_cmp_lt_u32_e64 s3, v5, v3
	v_cmp_lt_u32_e64 s4, v6, v3
	v_add_nc_u32_e32 v6, 4, v1
	v_cndmask_b32_e64 v5, 0, 4, vcc_lo
	v_cmp_gt_u32_e32 vcc_lo, 56, v1
	s_delay_alu instid0(VALU_DEP_3) | instskip(NEXT) | instid1(VALU_DEP_3)
	v_cmp_lt_u32_e64 s5, v6, v3
	v_add_lshl_u32 v10, v5, v1, 2
	v_cndmask_b32_e64 v5, 0, 8, vcc_lo
	v_cmp_gt_u32_e32 vcc_lo, 48, v1
	s_wait_dscnt 0x0
	v_dual_add_nc_u32 v6, 8, v1 :: v_dual_add_f32 v2, v4, v2
	s_delay_alu instid0(VALU_DEP_3) | instskip(SKIP_1) | instid1(VALU_DEP_3)
	v_add_lshl_u32 v11, v5, v1, 2
	v_cndmask_b32_e64 v5, 0, 16, vcc_lo
	v_cmp_lt_u32_e64 s6, v6, v3
	s_delay_alu instid0(VALU_DEP_4) | instskip(NEXT) | instid1(VALU_DEP_3)
	v_cndmask_b32_e64 v2, v4, v2, s3
	v_add_lshl_u32 v12, v5, v1, 2
	v_add_nc_u32_e32 v5, 16, v1
	ds_bpermute_b32 v4, v9, v2
	v_cmp_lt_u32_e64 s7, v5, v3
	v_or_b32_e32 v5, 32, v1
	s_delay_alu instid0(VALU_DEP_1) | instskip(SKIP_2) | instid1(VALU_DEP_1)
	v_cmp_lt_u32_e64 s10, v5, v3
	s_wait_dscnt 0x0
	v_add_f32_e32 v4, v2, v4
	v_cndmask_b32_e64 v2, v2, v4, s4
	ds_bpermute_b32 v4, v10, v2
	s_wait_dscnt 0x0
	v_add_f32_e32 v4, v2, v4
	s_delay_alu instid0(VALU_DEP_1) | instskip(SKIP_3) | instid1(VALU_DEP_1)
	v_cndmask_b32_e64 v2, v2, v4, s5
	ds_bpermute_b32 v4, v11, v2
	s_wait_dscnt 0x0
	v_add_f32_e32 v4, v2, v4
	v_cndmask_b32_e64 v2, v2, v4, s6
	ds_bpermute_b32 v4, v12, v2
	s_wait_dscnt 0x0
	v_add_f32_e32 v4, v2, v4
	s_delay_alu instid0(VALU_DEP_1) | instskip(SKIP_3) | instid1(VALU_DEP_1)
	v_cndmask_b32_e64 v2, v2, v4, s7
	ds_bpermute_b32 v4, v8, v2 offset:128
	s_wait_dscnt 0x0
	v_add_f32_e32 v4, v2, v4
	v_cndmask_b32_e64 v2, v2, v4, s10
	s_and_saveexec_b32 s9, s8
; %bb.6:
	v_lshrrev_b32_e32 v3, 4, v0
	s_delay_alu instid0(VALU_DEP_1)
	v_and_b32_e32 v3, 60, v3
	ds_store_b32 v3, v2 offset:128
; %bb.7:
	s_or_b32 exec_lo, exec_lo, s9
	v_cmp_gt_u32_e64 s9, 16, v0
	v_and_b32_e32 v5, 15, v1
	v_or_b32_e32 v6, 32, v8
	s_wait_dscnt 0x0
	s_barrier_signal -1
	s_barrier_wait -1
	s_and_saveexec_b32 s35, s9
	s_cbranch_execz .LBB8_9
; %bb.8:
	ds_load_b32 v2, v8 offset:128
	v_cmp_ne_u32_e32 vcc_lo, 15, v5
	s_add_co_i32 s11, s36, 63
	v_add_nc_u32_e32 v13, 1, v5
	s_lshr_b32 s37, s11, 6
	v_cmp_gt_u32_e64 s11, 12, v5
	v_add_co_ci_u32_e64 v3, null, 0, v1, vcc_lo
	v_cmp_gt_u32_e32 vcc_lo, 14, v5
	s_delay_alu instid0(VALU_DEP_3) | instskip(NEXT) | instid1(VALU_DEP_3)
	v_cndmask_b32_e64 v14, 0, 4, s11
	v_lshlrev_b32_e32 v3, 2, v3
	v_cndmask_b32_e64 v4, 0, 2, vcc_lo
	v_cmp_gt_u32_e32 vcc_lo, s37, v13
	v_add_nc_u32_e32 v13, 2, v5
	s_delay_alu instid0(VALU_DEP_3)
	v_add_lshl_u32 v4, v4, v1, 2
	s_wait_dscnt 0x0
	ds_bpermute_b32 v3, v3, v2
	v_cmp_gt_u32_e64 s11, s37, v13
	s_wait_dscnt 0x0
	v_dual_add_nc_u32 v13, 4, v5 :: v_dual_add_f32 v3, v2, v3
	s_delay_alu instid0(VALU_DEP_1) | instskip(SKIP_3) | instid1(VALU_DEP_1)
	v_cndmask_b32_e32 v3, v2, v3, vcc_lo
	ds_bpermute_b32 v4, v4, v3
	s_wait_dscnt 0x0
	v_add_f32_e32 v4, v3, v4
	v_cndmask_b32_e64 v3, v3, v4, s11
	v_add_lshl_u32 v4, v14, v1, 2
	v_cmp_gt_u32_e64 s11, s37, v13
	v_add_nc_u32_e32 v13, 8, v5
	ds_bpermute_b32 v4, v4, v3
	s_wait_dscnt 0x0
	v_add_f32_e32 v4, v3, v4
	s_delay_alu instid0(VALU_DEP_1) | instskip(SKIP_4) | instid1(VALU_DEP_1)
	v_cndmask_b32_e64 v3, v3, v4, s11
	v_cmp_gt_u32_e64 s11, s37, v13
	ds_bpermute_b32 v4, v6, v3
	s_wait_dscnt 0x0
	v_add_f32_e32 v4, v3, v4
	v_cndmask_b32_e64 v3, v3, v4, s11
	s_delay_alu instid0(VALU_DEP_1)
	v_cndmask_b32_e32 v2, v2, v3, vcc_lo
.LBB8_9:
	s_or_b32 exec_lo, exec_lo, s35
	v_cmp_eq_u32_e64 s11, 0, v0
	s_and_saveexec_b32 s35, s11
	s_cbranch_execz .LBB8_11
; %bb.10:
	s_cvt_f32_i32 s37, s23
	s_delay_alu instid0(SALU_CYCLE_3) | instskip(SKIP_1) | instid1(VALU_DEP_2)
	v_div_scale_f32 v3, null, s37, s37, v2
	v_div_scale_f32 v14, vcc_lo, v2, s37, v2
	v_rcp_f32_e32 v4, v3
	v_nop
	s_delay_alu instid0(TRANS32_DEP_1) | instskip(NEXT) | instid1(VALU_DEP_1)
	v_fma_f32 v13, -v3, v4, 1.0
	v_fmac_f32_e32 v4, v13, v4
	s_delay_alu instid0(VALU_DEP_1) | instskip(NEXT) | instid1(VALU_DEP_1)
	v_mul_f32_e32 v13, v14, v4
	v_fma_f32 v15, -v3, v13, v14
	s_delay_alu instid0(VALU_DEP_1) | instskip(NEXT) | instid1(VALU_DEP_1)
	v_fmac_f32_e32 v13, v15, v4
	v_fma_f32 v3, -v3, v13, v14
	s_delay_alu instid0(VALU_DEP_1) | instskip(NEXT) | instid1(VALU_DEP_1)
	v_div_fmas_f32 v3, v3, v4, v13
	v_div_fixup_f32 v2, v3, s37, v2
	s_delay_alu instid0(VALU_DEP_1) | instskip(NEXT) | instid1(VALU_DEP_1)
	v_add_f32_e32 v2, s22, v2
	v_mul_f32_e32 v3, 0x4b800000, v2
	v_cmp_gt_f32_e32 vcc_lo, 0x800000, v2
	s_delay_alu instid0(VALU_DEP_2) | instskip(NEXT) | instid1(VALU_DEP_1)
	v_cndmask_b32_e32 v2, v2, v3, vcc_lo
	v_rsq_f32_e32 v2, v2
	v_nop
	s_delay_alu instid0(TRANS32_DEP_1) | instskip(NEXT) | instid1(VALU_DEP_1)
	v_mul_f32_e32 v3, 0x45800000, v2
	v_dual_cndmask_b32 v2, v2, v3 :: v_dual_mov_b32 v3, 0
	ds_store_b32 v3, v2 offset:264
.LBB8_11:
	s_or_b32 exec_lo, exec_lo, s35
	v_mov_b32_e32 v13, 0
	s_wait_dscnt 0x0
	s_barrier_signal -1
	s_barrier_wait -1
	ds_load_b32 v4, v13 offset:264
	s_and_saveexec_b32 s37, s2
	s_cbranch_execz .LBB8_15
; %bb.12:
	s_cmp_lt_u32 s26, s34
	s_mov_b32 s35, 0
	s_cselect_b32 s34, 12, 18
	v_dual_mov_b32 v3, 0 :: v_dual_mov_b32 v13, 0
	s_add_nc_u64 s[38:39], s[28:29], s[34:35]
	v_mov_b32_e32 v2, v0
	s_load_u16 s34, s[38:39], 0x0
.LBB8_13:                               ; =>This Inner Loop Header: Depth=1
	s_delay_alu instid0(VALU_DEP_1) | instskip(NEXT) | instid1(VALU_DEP_2)
	v_add_nc_u64_e32 v[14:15], s[24:25], v[2:3]
	v_max_num_f32_e32 v13, v13, v13
	s_delay_alu instid0(VALU_DEP_2) | instskip(NEXT) | instid1(VALU_DEP_1)
	v_lshlrev_b64_e32 v[14:15], 1, v[14:15]
	v_add_nc_u64_e32 v[16:17], s[16:17], v[14:15]
	v_add_nc_u64_e32 v[14:15], s[30:31], v[14:15]
	global_load_u16 v18, v[16:17], off
	global_load_u16 v19, v[14:15], off
	global_load_u16 v20, v2, s[18:19] scale_offset
	s_wait_kmcnt 0x0
	v_add_nc_u32_e32 v2, s34, v2
	s_delay_alu instid0(VALU_DEP_1)
	v_cmp_le_u32_e32 vcc_lo, s23, v2
	s_or_b32 s35, vcc_lo, s35
	s_wait_loadcnt 0x2
	v_cvt_f32_f16_e32 v14, v18
	s_wait_loadcnt 0x1
	v_cvt_f32_f16_e32 v15, v19
	s_delay_alu instid0(VALU_DEP_1) | instskip(SKIP_1) | instid1(VALU_DEP_1)
	v_add_f32_e32 v14, v14, v15
	s_wait_dscnt 0x0
	v_fma_mixlo_f16 v14, v4, v14, 0
	s_wait_loadcnt 0x0
	s_delay_alu instid0(VALU_DEP_1) | instskip(NEXT) | instid1(VALU_DEP_1)
	v_mul_f16_e32 v14, v20, v14
	v_cvt_f32_f16_e64 v14, |v14|
	s_delay_alu instid0(VALU_DEP_1)
	v_max_num_f32_e32 v13, v13, v14
	s_and_not1_b32 exec_lo, exec_lo, s35
	s_cbranch_execnz .LBB8_13
; %bb.14:
	s_or_b32 exec_lo, exec_lo, s35
.LBB8_15:
	s_delay_alu instid0(SALU_CYCLE_1)
	s_or_b32 exec_lo, exec_lo, s37
	ds_bpermute_b32 v3, v7, v13
	v_or_b32_e32 v2, 0x80, v8
	s_wait_dscnt 0x0
	v_cmp_lt_f32_e32 vcc_lo, v13, v3
	v_cndmask_b32_e32 v3, v13, v3, vcc_lo
	s_delay_alu instid0(VALU_DEP_1) | instskip(SKIP_1) | instid1(SALU_CYCLE_1)
	v_cndmask_b32_e64 v3, v13, v3, s3
	s_or_b32 s3, s3, s4
	s_or_b32 s3, s5, s3
	s_delay_alu instid0(SALU_CYCLE_1)
	s_or_b32 s3, s6, s3
	ds_bpermute_b32 v7, v9, v3
	s_or_b32 s3, s7, s3
	s_wait_dscnt 0x0
	v_cmp_lt_f32_e32 vcc_lo, v3, v7
	v_cndmask_b32_e32 v7, v3, v7, vcc_lo
	s_delay_alu instid0(VALU_DEP_1) | instskip(SKIP_4) | instid1(VALU_DEP_1)
	v_cndmask_b32_e64 v3, v3, v7, s4
	ds_bpermute_b32 v7, v10, v3
	s_wait_dscnt 0x0
	v_cmp_lt_f32_e32 vcc_lo, v3, v7
	v_cndmask_b32_e32 v7, v3, v7, vcc_lo
	v_cndmask_b32_e64 v3, v3, v7, s5
	ds_bpermute_b32 v7, v11, v3
	s_wait_dscnt 0x0
	v_cmp_lt_f32_e32 vcc_lo, v3, v7
	v_cndmask_b32_e32 v7, v3, v7, vcc_lo
	s_delay_alu instid0(VALU_DEP_1) | instskip(SKIP_4) | instid1(VALU_DEP_1)
	v_cndmask_b32_e64 v3, v3, v7, s6
	ds_bpermute_b32 v7, v12, v3
	s_wait_dscnt 0x0
	v_cmp_lt_f32_e32 vcc_lo, v3, v7
	v_cndmask_b32_e32 v7, v3, v7, vcc_lo
	v_cndmask_b32_e64 v3, v3, v7, s7
	ds_bpermute_b32 v2, v2, v3
	s_wait_dscnt 0x0
	v_cmp_lt_f32_e32 vcc_lo, v3, v2
	s_and_b32 vcc_lo, s10, vcc_lo
	v_cndmask_b32_e32 v2, v3, v2, vcc_lo
	s_or_b32 vcc_lo, s10, s3
	s_delay_alu instid0(VALU_DEP_1)
	v_cndmask_b32_e32 v2, v13, v2, vcc_lo
	s_and_saveexec_b32 s3, s8
; %bb.16:
	v_lshrrev_b32_e32 v3, 4, v0
	s_delay_alu instid0(VALU_DEP_1)
	v_and_b32_e32 v3, 60, v3
	ds_store_b32 v3, v2 offset:192
; %bb.17:
	s_or_b32 exec_lo, exec_lo, s3
	s_wait_dscnt 0x0
	s_barrier_signal -1
	s_barrier_wait -1
	s_and_saveexec_b32 s5, s9
	s_cbranch_execz .LBB8_19
; %bb.18:
	ds_load_b32 v2, v8 offset:192
	v_cmp_ne_u32_e32 vcc_lo, 15, v5
	s_add_co_i32 s3, s36, 63
	v_add_nc_u32_e32 v7, 1, v5
	s_lshr_b32 s4, s3, 6
	v_cmp_gt_u32_e64 s3, 12, v5
	v_add_co_ci_u32_e64 v3, null, 0, v1, vcc_lo
	v_cmp_gt_u32_e32 vcc_lo, 14, v5
	s_delay_alu instid0(VALU_DEP_3) | instskip(NEXT) | instid1(VALU_DEP_3)
	v_cndmask_b32_e64 v9, 0, 4, s3
	v_lshlrev_b32_e32 v3, 2, v3
	v_cndmask_b32_e64 v8, 0, 2, vcc_lo
	s_delay_alu instid0(VALU_DEP_1) | instskip(NEXT) | instid1(VALU_DEP_4)
	v_add_lshl_u32 v8, v8, v1, 2
	v_add_lshl_u32 v1, v9, v1, 2
	s_wait_dscnt 0x0
	ds_bpermute_b32 v3, v3, v2
	s_wait_dscnt 0x0
	v_cmp_lt_f32_e32 vcc_lo, v2, v3
	v_cndmask_b32_e32 v3, v2, v3, vcc_lo
	v_cmp_gt_u32_e32 vcc_lo, s4, v7
	s_delay_alu instid0(VALU_DEP_2) | instskip(SKIP_4) | instid1(VALU_DEP_1)
	v_cndmask_b32_e32 v3, v2, v3, vcc_lo
	ds_bpermute_b32 v7, v8, v3
	v_add_nc_u32_e32 v8, 2, v5
	s_wait_dscnt 0x0
	v_cmp_lt_f32_e64 s3, v3, v7
	v_cndmask_b32_e64 v7, v3, v7, s3
	s_delay_alu instid0(VALU_DEP_3) | instskip(NEXT) | instid1(VALU_DEP_1)
	v_cmp_gt_u32_e64 s3, s4, v8
	v_dual_cndmask_b32 v3, v3, v7, s3 :: v_dual_add_nc_u32 v7, 4, v5
	v_add_nc_u32_e32 v5, 8, v5
	ds_bpermute_b32 v1, v1, v3
	s_wait_dscnt 0x0
	v_cmp_lt_f32_e64 s3, v3, v1
	s_delay_alu instid0(VALU_DEP_1) | instskip(SKIP_1) | instid1(VALU_DEP_1)
	v_cndmask_b32_e64 v1, v3, v1, s3
	v_cmp_gt_u32_e64 s3, s4, v7
	v_cndmask_b32_e64 v1, v3, v1, s3
	v_cmp_gt_u32_e64 s3, s4, v5
	ds_bpermute_b32 v3, v6, v1
	s_wait_dscnt 0x0
	v_cmp_lt_f32_e64 s4, v1, v3
	s_and_b32 s3, s3, s4
	s_delay_alu instid0(SALU_CYCLE_1) | instskip(NEXT) | instid1(VALU_DEP_1)
	v_cndmask_b32_e64 v1, v1, v3, s3
	v_cndmask_b32_e32 v2, v2, v1, vcc_lo
.LBB8_19:
	s_or_b32 exec_lo, exec_lo, s5
	s_and_saveexec_b32 s3, s11
	s_cbranch_execz .LBB8_23
; %bb.20:
	s_cmp_eq_u64 s[20:21], 0
	s_cbranch_scc1 .LBB8_22
; %bb.21:
	s_load_b32 s4, s[20:21], 0x0
	v_max_num_f32_e32 v1, v2, v2
	s_wait_kmcnt 0x0
	v_max_num_f32_e64 v2, s4, s4
	s_delay_alu instid0(VALU_DEP_1)
	v_min_num_f32_e32 v2, v1, v2
.LBB8_22:
	s_delay_alu instid0(VALU_DEP_1)
	v_div_scale_f32 v1, null, 0x42fe0000, 0x42fe0000, v2
	v_div_scale_f32 v6, vcc_lo, v2, 0x42fe0000, v2
	s_lshl_b64 s[4:5], s[26:27], 2
	v_rcp_f32_e32 v3, v1
	s_add_nc_u64 s[4:5], s[14:15], s[4:5]
	v_nop
	s_delay_alu instid0(TRANS32_DEP_1) | instskip(NEXT) | instid1(VALU_DEP_1)
	v_fma_f32 v5, -v1, v3, 1.0
	v_fmac_f32_e32 v3, v5, v3
	s_delay_alu instid0(VALU_DEP_1) | instskip(NEXT) | instid1(VALU_DEP_1)
	v_mul_f32_e32 v5, v6, v3
	v_fma_f32 v7, -v1, v5, v6
	s_delay_alu instid0(VALU_DEP_1) | instskip(NEXT) | instid1(VALU_DEP_1)
	v_fmac_f32_e32 v5, v7, v3
	v_fma_f32 v1, -v1, v5, v6
	s_delay_alu instid0(VALU_DEP_1) | instskip(NEXT) | instid1(VALU_DEP_1)
	v_div_fmas_f32 v1, v1, v3, v5
	v_div_fixup_f32 v1, v1, 0x42fe0000, v2
	s_delay_alu instid0(VALU_DEP_1)
	v_dual_mov_b32 v2, 0 :: v_dual_max_num_f32 v1, 0x34000000, v1
	ds_store_b32 v2, v1 offset:268
	global_store_b32 v2, v1, s[4:5]
.LBB8_23:
	s_wait_xcnt 0x0
	s_or_b32 exec_lo, exec_lo, s3
	s_wait_storecnt_dscnt 0x0
	s_barrier_signal -1
	s_barrier_wait -1
	s_and_saveexec_b32 s3, s2
	s_cbranch_execz .LBB8_26
; %bb.24:
	v_mov_b32_e32 v3, 0
	s_mov_b32 s2, 0
	ds_load_b32 v1, v3 offset:268
	s_wait_dscnt 0x0
	v_div_scale_f32 v2, null, v1, v1, 1.0
	v_div_scale_f32 v7, vcc_lo, 1.0, v1, 1.0
	s_delay_alu instid0(VALU_DEP_2)
	v_rcp_f32_e32 v5, v2
	v_nop
	v_xor_b32_e32 v2, 0x80000000, v2
	s_delay_alu instid0(TRANS32_DEP_1) | instid1(VALU_DEP_1)
	v_fma_f32 v6, v2, v5, 1.0
	s_delay_alu instid0(VALU_DEP_1) | instskip(NEXT) | instid1(VALU_DEP_1)
	v_fmac_f32_e32 v5, v6, v5
	v_mul_f32_e32 v6, v7, v5
	s_delay_alu instid0(VALU_DEP_1) | instskip(NEXT) | instid1(VALU_DEP_1)
	v_fma_f32 v8, v2, v6, v7
	v_fmac_f32_e32 v6, v8, v5
	s_delay_alu instid0(VALU_DEP_1) | instskip(NEXT) | instid1(VALU_DEP_1)
	v_fmac_f32_e32 v7, v2, v6
	v_div_fmas_f32 v2, v7, v5, v6
	s_delay_alu instid0(VALU_DEP_1)
	v_div_fixup_f32 v1, v2, v1, 1.0
	v_mov_b32_e32 v2, v0
.LBB8_25:                               ; =>This Inner Loop Header: Depth=1
	s_delay_alu instid0(VALU_DEP_1) | instskip(NEXT) | instid1(VALU_DEP_1)
	v_add_nc_u64_e32 v[6:7], s[24:25], v[2:3]
	v_lshlrev_b64_e32 v[8:9], 1, v[6:7]
	v_add_nc_u64_e32 v[6:7], s[12:13], v[6:7]
	s_delay_alu instid0(VALU_DEP_2)
	v_add_nc_u64_e32 v[10:11], s[16:17], v[8:9]
	v_add_nc_u64_e32 v[8:9], s[30:31], v[8:9]
	global_load_u16 v5, v[10:11], off
	global_load_u16 v12, v[8:9], off
	global_load_u16 v13, v2, s[18:19] scale_offset
	s_wait_xcnt 0x0
	v_add_nc_u32_e32 v2, s36, v2
	s_wait_loadcnt 0x2
	v_cvt_f32_f16_e32 v5, v5
	s_wait_loadcnt 0x1
	v_cvt_f32_f16_e32 v10, v12
	s_delay_alu instid0(VALU_DEP_1) | instskip(NEXT) | instid1(VALU_DEP_1)
	v_add_f32_e32 v5, v5, v10
	v_fma_mixlo_f16 v10, v4, v5, 0
	s_wait_loadcnt 0x0
	s_delay_alu instid0(VALU_DEP_1) | instskip(NEXT) | instid1(VALU_DEP_1)
	v_mul_f16_e32 v10, v13, v10
	v_cvt_f32_f16_e32 v10, v10
	s_delay_alu instid0(VALU_DEP_1) | instskip(NEXT) | instid1(VALU_DEP_1)
	v_mul_f32_e32 v10, v1, v10
	v_rndne_f32_e32 v10, v10
	s_delay_alu instid0(VALU_DEP_1) | instskip(SKIP_2) | instid1(VALU_DEP_2)
	v_cmp_nlt_f32_e32 vcc_lo, 0x42fe0000, v10
	v_cndmask_b32_e32 v11, 0x42fe0000, v10, vcc_lo
	v_cmp_ngt_f32_e32 vcc_lo, 0xc3000000, v10
	v_cndmask_b32_e32 v10, 0xc3000000, v11, vcc_lo
	v_cmp_le_u32_e32 vcc_lo, s23, v2
	v_cvt_f16_f32_e32 v5, v5
	s_delay_alu instid0(VALU_DEP_3)
	v_cvt_i32_f32_e32 v10, v10
	s_or_b32 s2, vcc_lo, s2
	global_store_b16 v[8:9], v5, off
	global_store_b8 v[6:7], v10, off
	s_wait_xcnt 0x0
	s_and_not1_b32 exec_lo, exec_lo, s2
	s_cbranch_execnz .LBB8_25
.LBB8_26:
	s_or_b32 exec_lo, exec_lo, s3
	s_branch .LBB8_71
.LBB8_27:
	s_cbranch_execz .LBB8_71
; %bb.28:
	s_load_b32 s1, s[0:1], 0x38
	s_bfe_u32 s2, ttmp6, 0x4000c
	s_wait_xcnt 0x0
	s_and_b32 s0, ttmp6, 15
	s_add_co_i32 s2, s2, 1
	s_mov_b32 s27, 0
	s_mul_i32 s2, ttmp9, s2
	v_mov_b32_e32 v1, 0
	s_add_co_i32 s0, s0, s2
	s_cmp_eq_u32 s33, 0
	s_mov_b32 s2, s23
	s_cselect_b32 s26, ttmp9, s0
	s_ashr_i32 s3, s23, 31
	s_ashr_i32 s33, s23, 2
	s_mul_u64 s[24:25], s[2:3], s[26:27]
	v_cmp_gt_u32_e64 s0, s33, v0
	s_lshl_b64 s[2:3], s[24:25], 1
	s_delay_alu instid0(SALU_CYCLE_1)
	s_add_nc_u64 s[10:11], s[16:17], s[2:3]
	s_add_nc_u64 s[16:17], s[30:31], s[2:3]
	s_and_saveexec_b32 s2, s0
	s_cbranch_execz .LBB8_38
; %bb.29:
	s_wait_kmcnt 0x0
	s_cmp_lt_u32 s26, s1
	s_mov_b32 s5, s27
	s_cselect_b32 s4, 12, 18
	v_dual_mov_b32 v1, 0 :: v_dual_mov_b32 v2, v0
	s_add_nc_u64 s[4:5], s[28:29], s[4:5]
	s_mov_b32 s6, s27
	s_load_u16 s3, s[4:5], 0x0
                                        ; implicit-def: $sgpr8
	s_wait_kmcnt 0x0
	s_lshl_b32 s4, s3, 1
	s_mul_i32 s5, s3, 3
	s_add_co_i32 s7, s3, s3
	s_branch .LBB8_33
.LBB8_30:                               ;   in Loop: Header=BB8_33 Depth=1
	s_or_b32 exec_lo, exec_lo, s31
	s_delay_alu instid0(SALU_CYCLE_1)
	s_or_not1_b32 s31, s34, exec_lo
.LBB8_31:                               ;   in Loop: Header=BB8_33 Depth=1
	s_or_b32 exec_lo, exec_lo, s30
	s_delay_alu instid0(SALU_CYCLE_1) | instskip(SKIP_1) | instid1(SALU_CYCLE_1)
	s_and_not1_b32 s8, s8, exec_lo
	s_and_b32 s30, s31, exec_lo
	s_or_b32 s8, s8, s30
.LBB8_32:                               ;   in Loop: Header=BB8_33 Depth=1
	s_or_b32 exec_lo, exec_lo, s9
	s_delay_alu instid0(SALU_CYCLE_1) | instskip(NEXT) | instid1(SALU_CYCLE_1)
	s_and_b32 s9, exec_lo, s8
	s_or_b32 s6, s9, s6
	s_delay_alu instid0(SALU_CYCLE_1)
	s_and_not1_b32 exec_lo, exec_lo, s6
	s_cbranch_execz .LBB8_37
.LBB8_33:                               ; =>This Inner Loop Header: Depth=1
	s_clause 0x1
	global_load_b64 v[4:5], v2, s[10:11] scale_offset
	global_load_b64 v[6:7], v2, s[16:17] scale_offset
	s_or_b32 s8, s8, exec_lo
	s_mov_b32 s9, exec_lo
	s_wait_loadcnt 0x0
	v_dual_lshrrev_b32 v3, 16, v4 :: v_dual_lshrrev_b32 v11, 16, v6
	v_cvt_f32_f16_e32 v8, v4
	v_cvt_f32_f16_e32 v10, v6
	;; [unrolled: 1-line block ×3, first 2 shown]
	s_delay_alu instid0(VALU_DEP_4) | instskip(SKIP_3) | instid1(VALU_DEP_3)
	v_cvt_f32_f16_e32 v9, v3
	v_cvt_f32_f16_e32 v11, v11
	v_dual_lshrrev_b32 v3, 16, v5 :: v_dual_lshrrev_b32 v12, 16, v7
	v_cvt_f32_f16_e32 v6, v7
	v_pk_add_f32 v[8:9], v[8:9], v[10:11]
	s_delay_alu instid0(VALU_DEP_3) | instskip(NEXT) | instid1(VALU_DEP_4)
	v_cvt_f32_f16_e32 v5, v3
	v_cvt_f32_f16_e32 v7, v12
	v_add_nc_u32_e32 v3, s3, v2
	s_delay_alu instid0(VALU_DEP_4) | instskip(NEXT) | instid1(VALU_DEP_3)
	v_pk_mul_f32 v[8:9], v[8:9], v[8:9]
	v_pk_add_f32 v[4:5], v[4:5], v[6:7]
	s_delay_alu instid0(VALU_DEP_2) | instskip(NEXT) | instid1(VALU_DEP_2)
	v_add_f32_e32 v1, v1, v8
	v_pk_mul_f32 v[4:5], v[4:5], v[4:5]
	s_delay_alu instid0(VALU_DEP_2) | instskip(NEXT) | instid1(VALU_DEP_1)
	v_add_f32_e32 v1, v1, v9
	v_add_f32_e32 v1, v1, v4
	s_delay_alu instid0(VALU_DEP_1)
	v_add_f32_e32 v1, v1, v5
	s_wait_xcnt 0x0
	v_cmpx_gt_u32_e64 s33, v3
	s_cbranch_execz .LBB8_32
; %bb.34:                               ;   in Loop: Header=BB8_33 Depth=1
	s_clause 0x1
	global_load_b64 v[4:5], v3, s[10:11] scale_offset
	global_load_b64 v[6:7], v3, s[16:17] scale_offset
	s_mov_b32 s31, -1
	s_mov_b32 s30, exec_lo
	s_wait_loadcnt 0x0
	v_dual_lshrrev_b32 v9, 16, v4 :: v_dual_lshrrev_b32 v11, 16, v6
	v_cvt_f32_f16_e32 v8, v4
	v_cvt_f32_f16_e32 v10, v6
	v_dual_lshrrev_b32 v12, 16, v5 :: v_dual_lshrrev_b32 v13, 16, v7
	s_delay_alu instid0(VALU_DEP_4)
	v_cvt_f32_f16_e32 v9, v9
	v_cvt_f32_f16_e32 v11, v11
	;; [unrolled: 1-line block ×6, first 2 shown]
	v_pk_add_f32 v[8:9], v[8:9], v[10:11]
	s_delay_alu instid0(VALU_DEP_2) | instskip(NEXT) | instid1(VALU_DEP_2)
	v_pk_add_f32 v[4:5], v[4:5], v[6:7]
	v_pk_mul_f32 v[8:9], v[8:9], v[8:9]
	s_delay_alu instid0(VALU_DEP_2) | instskip(NEXT) | instid1(VALU_DEP_2)
	v_pk_mul_f32 v[4:5], v[4:5], v[4:5]
	v_add_f32_e32 v1, v1, v8
	s_delay_alu instid0(VALU_DEP_1) | instskip(NEXT) | instid1(VALU_DEP_1)
	v_add_f32_e32 v1, v1, v9
	v_dual_add_f32 v1, v1, v4 :: v_dual_add_nc_u32 v4, s4, v2
	s_delay_alu instid0(VALU_DEP_1) | instskip(SKIP_1) | instid1(VALU_DEP_2)
	v_add_f32_e32 v1, v1, v5
	s_wait_xcnt 0x0
	v_cmpx_gt_u32_e64 s33, v4
	s_cbranch_execz .LBB8_31
; %bb.35:                               ;   in Loop: Header=BB8_33 Depth=1
	s_clause 0x1
	global_load_b64 v[6:7], v4, s[10:11] scale_offset
	global_load_b64 v[8:9], v4, s[16:17] scale_offset
	s_mov_b32 s34, -1
	s_mov_b32 s31, exec_lo
	s_wait_loadcnt 0x0
	v_dual_lshrrev_b32 v5, 16, v6 :: v_dual_lshrrev_b32 v11, 16, v8
	s_wait_xcnt 0x0
	v_cvt_f32_f16_e32 v4, v6
	v_cvt_f32_f16_e32 v10, v8
	v_dual_lshrrev_b32 v12, 16, v7 :: v_dual_lshrrev_b32 v13, 16, v9
	v_cvt_f32_f16_e32 v5, v5
	v_cvt_f32_f16_e32 v11, v11
	;; [unrolled: 1-line block ×6, first 2 shown]
	v_pk_add_f32 v[4:5], v[4:5], v[10:11]
	s_delay_alu instid0(VALU_DEP_2) | instskip(NEXT) | instid1(VALU_DEP_2)
	v_pk_add_f32 v[6:7], v[6:7], v[8:9]
	v_pk_mul_f32 v[4:5], v[4:5], v[4:5]
	s_delay_alu instid0(VALU_DEP_2) | instskip(NEXT) | instid1(VALU_DEP_2)
	v_pk_mul_f32 v[6:7], v[6:7], v[6:7]
	v_dual_add_f32 v1, v1, v4 :: v_dual_add_nc_u32 v4, s5, v2
                                        ; implicit-def: $vgpr2
	s_delay_alu instid0(VALU_DEP_1) | instskip(NEXT) | instid1(VALU_DEP_1)
	v_add_f32_e32 v1, v1, v5
	v_add_f32_e32 v1, v1, v6
	s_delay_alu instid0(VALU_DEP_1) | instskip(NEXT) | instid1(VALU_DEP_4)
	v_add_f32_e32 v1, v1, v7
	v_cmpx_gt_u32_e64 s33, v4
	s_xor_b32 s31, exec_lo, s31
	s_cbranch_execz .LBB8_30
; %bb.36:                               ;   in Loop: Header=BB8_33 Depth=1
	s_clause 0x1
	global_load_b64 v[6:7], v4, s[10:11] scale_offset
	global_load_b64 v[8:9], v4, s[16:17] scale_offset
	s_wait_loadcnt 0x0
	v_dual_lshrrev_b32 v2, 16, v6 :: v_dual_lshrrev_b32 v11, 16, v8
	s_wait_xcnt 0x0
	v_cvt_f32_f16_e32 v4, v6
	v_cvt_f32_f16_e32 v10, v8
	;; [unrolled: 1-line block ×5, first 2 shown]
	v_lshrrev_b32_e32 v2, 16, v7
	v_cvt_f32_f16_e32 v8, v9
	s_delay_alu instid0(VALU_DEP_3) | instskip(SKIP_1) | instid1(VALU_DEP_4)
	v_pk_add_f32 v[4:5], v[4:5], v[10:11]
	v_lshrrev_b32_e32 v10, 16, v9
	v_cvt_f32_f16_e32 v7, v2
	v_add3_u32 v2, s7, s3, v3
	s_delay_alu instid0(VALU_DEP_4) | instskip(NEXT) | instid1(VALU_DEP_4)
	v_pk_mul_f32 v[4:5], v[4:5], v[4:5]
	v_cvt_f32_f16_e32 v9, v10
	s_delay_alu instid0(VALU_DEP_3) | instskip(NEXT) | instid1(VALU_DEP_3)
	v_cmp_le_u32_e32 vcc_lo, s33, v2
	v_add_f32_e32 v1, v1, v4
	s_delay_alu instid0(VALU_DEP_3) | instskip(SKIP_1) | instid1(VALU_DEP_2)
	v_pk_add_f32 v[6:7], v[6:7], v[8:9]
	s_or_not1_b32 s34, vcc_lo, exec_lo
	v_add_f32_e32 v1, v1, v5
	s_delay_alu instid0(VALU_DEP_2) | instskip(NEXT) | instid1(VALU_DEP_1)
	v_pk_mul_f32 v[4:5], v[6:7], v[6:7]
	v_add_f32_e32 v1, v1, v4
	s_delay_alu instid0(VALU_DEP_1)
	v_add_f32_e32 v1, v1, v5
	s_branch .LBB8_30
.LBB8_37:
	s_or_b32 exec_lo, exec_lo, s6
.LBB8_38:
	s_delay_alu instid0(SALU_CYCLE_1)
	s_or_b32 exec_lo, exec_lo, s2
	v_mbcnt_lo_u32_b32 v2, -1, 0
	s_wait_kmcnt 0x0
	s_cmp_lt_u32 s26, s1
	s_mov_b32 s3, 0
	s_cselect_b32 s2, 12, 18
	v_and_b32_e32 v5, 0x3c0, v0
	v_cmp_ne_u32_e32 vcc_lo, 63, v2
	s_add_nc_u64 s[2:3], s[28:29], s[2:3]
	v_cmp_eq_u32_e64 s6, 0, v2
	s_load_u16 s28, s[2:3], 0x0
	v_add_nc_u32_e32 v6, 1, v2
	v_add_co_ci_u32_e64 v3, null, 0, v2, vcc_lo
	v_cmp_gt_u32_e32 vcc_lo, 62, v2
	v_dual_add_nc_u32 v8, 4, v2 :: v_dual_add_nc_u32 v10, 8, v2
	s_delay_alu instid0(VALU_DEP_3)
	v_lshlrev_b32_e32 v4, 2, v3
	v_cndmask_b32_e64 v7, 0, 2, vcc_lo
	v_cmp_gt_u32_e32 vcc_lo, 60, v2
	ds_bpermute_b32 v3, v4, v1
	s_wait_kmcnt 0x0
	v_sub_nc_u32_e64 v9, s28, v5 clamp
	v_add_lshl_u32 v5, v7, v2, 2
	v_add_nc_u32_e32 v7, 2, v2
	s_delay_alu instid0(VALU_DEP_3) | instskip(SKIP_1) | instid1(VALU_DEP_3)
	v_cmp_lt_u32_e64 s1, v6, v9
	v_cndmask_b32_e64 v6, 0, 4, vcc_lo
	v_cmp_lt_u32_e64 s2, v7, v9
	v_cmp_gt_u32_e32 vcc_lo, 56, v2
	v_cmp_lt_u32_e64 s3, v8, v9
	v_cmp_lt_u32_e64 s4, v10, v9
	v_add_lshl_u32 v6, v6, v2, 2
	s_wait_dscnt 0x0
	v_dual_add_f32 v3, v1, v3 :: v_dual_add_nc_u32 v10, 16, v2
	v_cndmask_b32_e64 v7, 0, 8, vcc_lo
	v_cmp_gt_u32_e32 vcc_lo, 48, v2
	s_delay_alu instid0(VALU_DEP_3) | instskip(NEXT) | instid1(VALU_DEP_4)
	v_cndmask_b32_e64 v1, v1, v3, s1
	v_cmp_lt_u32_e64 s5, v10, v9
	s_delay_alu instid0(VALU_DEP_4)
	v_add_lshl_u32 v7, v7, v2, 2
	v_cndmask_b32_e64 v8, 0, 16, vcc_lo
	ds_bpermute_b32 v3, v5, v1
	v_add_lshl_u32 v8, v8, v2, 2
	s_wait_dscnt 0x0
	v_add_f32_e32 v3, v1, v3
	s_delay_alu instid0(VALU_DEP_1) | instskip(SKIP_3) | instid1(VALU_DEP_1)
	v_cndmask_b32_e64 v1, v1, v3, s2
	ds_bpermute_b32 v3, v6, v1
	s_wait_dscnt 0x0
	v_add_f32_e32 v3, v1, v3
	v_cndmask_b32_e64 v1, v1, v3, s3
	ds_bpermute_b32 v3, v7, v1
	s_wait_dscnt 0x0
	v_add_f32_e32 v3, v1, v3
	s_delay_alu instid0(VALU_DEP_1) | instskip(SKIP_3) | instid1(VALU_DEP_1)
	v_cndmask_b32_e64 v1, v1, v3, s4
	ds_bpermute_b32 v3, v8, v1
	s_wait_dscnt 0x0
	v_dual_add_f32 v11, v1, v3 :: v_dual_lshlrev_b32 v3, 2, v2
	v_dual_cndmask_b32 v1, v1, v11, s5 :: v_dual_bitop2_b32 v11, 32, v2 bitop3:0x54
	ds_bpermute_b32 v10, v3, v1 offset:128
	v_cmp_lt_u32_e64 s8, v11, v9
	s_wait_dscnt 0x0
	v_add_f32_e32 v10, v1, v10
	s_delay_alu instid0(VALU_DEP_1)
	v_cndmask_b32_e64 v1, v1, v10, s8
	s_and_saveexec_b32 s7, s6
; %bb.39:
	v_lshrrev_b32_e32 v9, 4, v0
	s_delay_alu instid0(VALU_DEP_1)
	v_and_b32_e32 v9, 60, v9
	ds_store_b32 v9, v1
; %bb.40:
	s_or_b32 exec_lo, exec_lo, s7
	v_cmp_gt_u32_e64 s7, 16, v0
	s_wait_storecnt_dscnt 0x0
	s_barrier_signal -1
	s_barrier_wait -1
	s_and_saveexec_b32 s29, s7
	s_cbranch_execz .LBB8_42
; %bb.41:
	ds_load_b32 v1, v3
	v_and_b32_e32 v9, 15, v2
	s_add_co_i32 s9, s28, 63
	s_delay_alu instid0(SALU_CYCLE_1) | instskip(NEXT) | instid1(VALU_DEP_1)
	s_lshr_b32 s30, s9, 6
	v_cmp_ne_u32_e32 vcc_lo, 15, v9
	v_add_nc_u32_e32 v12, 1, v9
	v_add_co_ci_u32_e64 v10, null, 0, v2, vcc_lo
	v_cmp_gt_u32_e32 vcc_lo, 14, v9
	s_delay_alu instid0(VALU_DEP_2)
	v_lshlrev_b32_e32 v10, 2, v10
	v_cndmask_b32_e64 v11, 0, 2, vcc_lo
	v_cmp_gt_u32_e32 vcc_lo, s30, v12
	s_wait_dscnt 0x0
	ds_bpermute_b32 v10, v10, v1
	v_add_lshl_u32 v11, v11, v2, 2
	s_wait_dscnt 0x0
	v_add_f32_e32 v10, v1, v10
	s_delay_alu instid0(VALU_DEP_1)
	v_cndmask_b32_e32 v10, v1, v10, vcc_lo
	ds_bpermute_b32 v11, v11, v10
	s_wait_dscnt 0x0
	v_add_f32_e32 v11, v10, v11
	v_cmp_gt_u32_e64 s9, 12, v9
	v_add_nc_u32_e32 v13, 2, v9
	s_delay_alu instid0(VALU_DEP_2) | instskip(NEXT) | instid1(VALU_DEP_2)
	v_cndmask_b32_e64 v12, 0, 4, s9
	v_cmp_gt_u32_e64 s9, s30, v13
	s_delay_alu instid0(VALU_DEP_2) | instskip(NEXT) | instid1(VALU_DEP_2)
	v_add_lshl_u32 v12, v12, v2, 2
	v_cndmask_b32_e64 v10, v10, v11, s9
	ds_bpermute_b32 v11, v12, v10
	v_dual_add_nc_u32 v12, 4, v9 :: v_dual_add_nc_u32 v9, 8, v9
	s_delay_alu instid0(VALU_DEP_1) | instskip(SKIP_2) | instid1(VALU_DEP_1)
	v_cmp_gt_u32_e64 s9, s30, v12
	s_wait_dscnt 0x0
	v_add_f32_e32 v11, v10, v11
	v_cndmask_b32_e64 v10, v10, v11, s9
	v_or_b32_e32 v11, 32, v3
	v_cmp_gt_u32_e64 s9, s30, v9
	ds_bpermute_b32 v11, v11, v10
	s_wait_dscnt 0x0
	v_add_f32_e32 v11, v10, v11
	s_delay_alu instid0(VALU_DEP_1) | instskip(NEXT) | instid1(VALU_DEP_1)
	v_cndmask_b32_e64 v9, v10, v11, s9
	v_cndmask_b32_e32 v1, v1, v9, vcc_lo
.LBB8_42:
	s_or_b32 exec_lo, exec_lo, s29
	v_cmp_eq_u32_e64 s9, 0, v0
	s_and_saveexec_b32 s29, s9
	s_cbranch_execz .LBB8_44
; %bb.43:
	s_cvt_f32_i32 s23, s23
	s_delay_alu instid0(SALU_CYCLE_3) | instskip(SKIP_1) | instid1(VALU_DEP_2)
	v_div_scale_f32 v9, null, s23, s23, v1
	v_div_scale_f32 v12, vcc_lo, v1, s23, v1
	v_rcp_f32_e32 v10, v9
	v_nop
	s_delay_alu instid0(TRANS32_DEP_1) | instskip(NEXT) | instid1(VALU_DEP_1)
	v_fma_f32 v11, -v9, v10, 1.0
	v_fmac_f32_e32 v10, v11, v10
	s_delay_alu instid0(VALU_DEP_1) | instskip(NEXT) | instid1(VALU_DEP_1)
	v_mul_f32_e32 v11, v12, v10
	v_fma_f32 v13, -v9, v11, v12
	s_delay_alu instid0(VALU_DEP_1) | instskip(NEXT) | instid1(VALU_DEP_1)
	v_fmac_f32_e32 v11, v13, v10
	v_fma_f32 v9, -v9, v11, v12
	s_delay_alu instid0(VALU_DEP_1) | instskip(NEXT) | instid1(VALU_DEP_1)
	v_div_fmas_f32 v9, v9, v10, v11
	v_div_fixup_f32 v1, v9, s23, v1
	s_delay_alu instid0(VALU_DEP_1) | instskip(NEXT) | instid1(VALU_DEP_1)
	v_add_f32_e32 v1, s22, v1
	v_mul_f32_e32 v9, 0x4b800000, v1
	v_cmp_gt_f32_e32 vcc_lo, 0x800000, v1
	s_delay_alu instid0(VALU_DEP_2) | instskip(NEXT) | instid1(VALU_DEP_1)
	v_cndmask_b32_e32 v1, v1, v9, vcc_lo
	v_rsq_f32_e32 v1, v1
	v_nop
	s_delay_alu instid0(TRANS32_DEP_1) | instskip(NEXT) | instid1(VALU_DEP_1)
	v_mul_f32_e32 v9, 0x45800000, v1
	v_dual_cndmask_b32 v1, v1, v9, vcc_lo :: v_dual_mov_b32 v9, 0
	ds_store_b32 v9, v1 offset:256
.LBB8_44:
	s_or_b32 exec_lo, exec_lo, s29
	v_mov_b32_e32 v9, 0
	s_wait_dscnt 0x0
	s_barrier_signal -1
	s_barrier_wait -1
	ds_load_b32 v1, v9 offset:256
	s_and_saveexec_b32 s22, s0
	s_cbranch_execz .LBB8_54
; %bb.45:
	v_dual_mov_b32 v9, 0 :: v_dual_mov_b32 v10, v0
	s_lshl_b32 s23, s28, 1
	s_mul_i32 s30, s28, 3
	s_mov_b32 s29, 0
	s_add_co_i32 s31, s28, s28
                                        ; implicit-def: $sgpr34
	s_branch .LBB8_49
.LBB8_46:                               ;   in Loop: Header=BB8_49 Depth=1
	s_or_b32 exec_lo, exec_lo, s37
	s_delay_alu instid0(SALU_CYCLE_1)
	s_or_not1_b32 s37, s38, exec_lo
.LBB8_47:                               ;   in Loop: Header=BB8_49 Depth=1
	s_or_b32 exec_lo, exec_lo, s36
	s_delay_alu instid0(SALU_CYCLE_1) | instskip(SKIP_1) | instid1(SALU_CYCLE_1)
	s_and_not1_b32 s34, s34, exec_lo
	s_and_b32 s36, s37, exec_lo
	s_or_b32 s34, s34, s36
.LBB8_48:                               ;   in Loop: Header=BB8_49 Depth=1
	s_or_b32 exec_lo, exec_lo, s35
	s_delay_alu instid0(SALU_CYCLE_1) | instskip(NEXT) | instid1(SALU_CYCLE_1)
	s_and_b32 s35, exec_lo, s34
	s_or_b32 s29, s35, s29
	s_delay_alu instid0(SALU_CYCLE_1)
	s_and_not1_b32 exec_lo, exec_lo, s29
	s_cbranch_execz .LBB8_53
.LBB8_49:                               ; =>This Inner Loop Header: Depth=1
	s_clause 0x2
	global_load_b64 v[12:13], v10, s[10:11] scale_offset
	global_load_b64 v[14:15], v10, s[16:17] scale_offset
	;; [unrolled: 1-line block ×3, first 2 shown]
	s_or_b32 s34, s34, exec_lo
	s_mov_b32 s35, exec_lo
	s_wait_loadcnt 0x2
	v_dual_lshrrev_b32 v11, 16, v12 :: v_dual_lshrrev_b32 v18, 16, v13
	s_wait_loadcnt 0x1
	v_dual_lshrrev_b32 v19, 16, v14 :: v_dual_lshrrev_b32 v20, 16, v15
	v_cvt_f32_f16_e32 v12, v12
	v_cvt_f32_f16_e32 v14, v14
	;; [unrolled: 1-line block ×3, first 2 shown]
	s_delay_alu instid0(VALU_DEP_4) | instskip(SKIP_3) | instid1(VALU_DEP_4)
	v_cvt_f32_f16_e32 v19, v19
	v_cvt_f32_f16_e32 v13, v13
	;; [unrolled: 1-line block ×4, first 2 shown]
	v_dual_add_f32 v12, v12, v14 :: v_dual_add_f32 v11, v11, v19
	v_cvt_f32_f16_e32 v14, v20
	s_wait_loadcnt 0x0
	v_dual_lshrrev_b32 v19, 16, v16 :: v_dual_add_f32 v13, v13, v15
	s_wait_dscnt 0x0
	v_fma_mixlo_f16 v12, v1, v12, 0
	v_fma_mixlo_f16 v11, v1, v11, 0
	v_dual_add_f32 v14, v18, v14 :: v_dual_lshrrev_b32 v15, 16, v17
	v_fma_mixlo_f16 v13, v1, v13, 0
	s_delay_alu instid0(VALU_DEP_4) | instskip(NEXT) | instid1(VALU_DEP_4)
	v_mul_f16_e32 v12, v16, v12
	v_mul_f16_e32 v11, v19, v11
	s_delay_alu instid0(VALU_DEP_4) | instskip(NEXT) | instid1(VALU_DEP_4)
	v_fma_mixlo_f16 v14, v1, v14, 0
	v_mul_f16_e32 v13, v17, v13
	s_delay_alu instid0(VALU_DEP_4) | instskip(NEXT) | instid1(VALU_DEP_4)
	v_cvt_f32_f16_e64 v12, |v12|
	v_cvt_f32_f16_e64 v11, |v11|
	s_delay_alu instid0(VALU_DEP_4) | instskip(NEXT) | instid1(VALU_DEP_4)
	v_mul_f16_e32 v14, v15, v14
	v_cvt_f32_f16_e64 v13, |v13|
	s_delay_alu instid0(VALU_DEP_3) | instskip(NEXT) | instid1(VALU_DEP_3)
	v_max3_num_f32 v9, v9, v12, v11
	v_cvt_f32_f16_e64 v14, |v14|
	v_add_nc_u32_e32 v11, s28, v10
	s_delay_alu instid0(VALU_DEP_2) | instskip(NEXT) | instid1(VALU_DEP_2)
	v_max3_num_f32 v9, v9, v13, v14
	v_cmpx_gt_u32_e64 s33, v11
	s_cbranch_execz .LBB8_48
; %bb.50:                               ;   in Loop: Header=BB8_49 Depth=1
	s_clause 0x2
	global_load_b64 v[12:13], v11, s[10:11] scale_offset
	global_load_b64 v[14:15], v11, s[16:17] scale_offset
	;; [unrolled: 1-line block ×3, first 2 shown]
	s_mov_b32 s37, -1
	s_mov_b32 s36, exec_lo
	s_wait_loadcnt 0x2
	v_dual_lshrrev_b32 v18, 16, v12 :: v_dual_lshrrev_b32 v19, 16, v13
	s_wait_loadcnt 0x1
	v_dual_lshrrev_b32 v20, 16, v14 :: v_dual_lshrrev_b32 v21, 16, v15
	v_cvt_f32_f16_e32 v12, v12
	v_cvt_f32_f16_e32 v14, v14
	;; [unrolled: 1-line block ×3, first 2 shown]
	s_delay_alu instid0(VALU_DEP_4) | instskip(SKIP_3) | instid1(VALU_DEP_4)
	v_cvt_f32_f16_e32 v20, v20
	v_cvt_f32_f16_e32 v13, v13
	;; [unrolled: 1-line block ×4, first 2 shown]
	v_dual_add_f32 v12, v12, v14 :: v_dual_add_f32 v18, v18, v20
	v_cvt_f32_f16_e32 v14, v21
	s_wait_loadcnt 0x0
	v_dual_add_f32 v13, v13, v15 :: v_dual_lshrrev_b32 v20, 16, v16
	s_delay_alu instid0(VALU_DEP_3) | instskip(SKIP_2) | instid1(VALU_DEP_4)
	v_fma_mixlo_f16 v12, v1, v12, 0
	v_fma_mixlo_f16 v15, v1, v18, 0
	v_dual_add_f32 v14, v19, v14 :: v_dual_lshrrev_b32 v18, 16, v17
	v_fma_mixlo_f16 v13, v1, v13, 0
	s_delay_alu instid0(VALU_DEP_4) | instskip(NEXT) | instid1(VALU_DEP_4)
	v_mul_f16_e32 v12, v16, v12
	v_mul_f16_e32 v15, v20, v15
	s_delay_alu instid0(VALU_DEP_4) | instskip(NEXT) | instid1(VALU_DEP_4)
	v_fma_mixlo_f16 v14, v1, v14, 0
	v_mul_f16_e32 v13, v17, v13
	s_delay_alu instid0(VALU_DEP_4) | instskip(NEXT) | instid1(VALU_DEP_4)
	v_cvt_f32_f16_e64 v12, |v12|
	v_cvt_f32_f16_e64 v15, |v15|
	s_delay_alu instid0(VALU_DEP_4) | instskip(NEXT) | instid1(VALU_DEP_4)
	v_mul_f16_e32 v14, v18, v14
	v_cvt_f32_f16_e64 v13, |v13|
	s_delay_alu instid0(VALU_DEP_3) | instskip(NEXT) | instid1(VALU_DEP_3)
	v_max3_num_f32 v9, v9, v12, v15
	v_cvt_f32_f16_e64 v14, |v14|
	v_add_nc_u32_e32 v12, s23, v10
	s_delay_alu instid0(VALU_DEP_2) | instskip(NEXT) | instid1(VALU_DEP_2)
	v_max3_num_f32 v9, v9, v13, v14
	v_cmpx_gt_u32_e64 s33, v12
	s_cbranch_execz .LBB8_47
; %bb.51:                               ;   in Loop: Header=BB8_49 Depth=1
	s_clause 0x2
	global_load_b64 v[14:15], v12, s[10:11] scale_offset
	global_load_b64 v[16:17], v12, s[16:17] scale_offset
	;; [unrolled: 1-line block ×3, first 2 shown]
	s_mov_b32 s38, -1
	s_mov_b32 s37, exec_lo
	s_wait_loadcnt 0x2
	s_wait_xcnt 0x0
	v_dual_lshrrev_b32 v12, 16, v14 :: v_dual_lshrrev_b32 v13, 16, v15
	s_wait_loadcnt 0x1
	v_dual_lshrrev_b32 v20, 16, v16 :: v_dual_lshrrev_b32 v21, 16, v17
	v_cvt_f32_f16_e32 v14, v14
	v_cvt_f32_f16_e32 v16, v16
	;; [unrolled: 1-line block ×3, first 2 shown]
	s_delay_alu instid0(VALU_DEP_4)
	v_cvt_f32_f16_e32 v20, v20
	v_cvt_f32_f16_e32 v15, v15
	;; [unrolled: 1-line block ×4, first 2 shown]
	v_add_f32_e32 v14, v14, v16
	v_cvt_f32_f16_e32 v16, v21
	s_delay_alu instid0(VALU_DEP_4)
	v_dual_add_f32 v12, v12, v20 :: v_dual_add_f32 v15, v15, v17
	s_wait_loadcnt 0x0
	v_lshrrev_b32_e32 v20, 16, v18
	v_fma_mixlo_f16 v14, v1, v14, 0
	v_dual_add_f32 v13, v13, v16 :: v_dual_lshrrev_b32 v16, 16, v19
	v_fma_mixlo_f16 v12, v1, v12, 0
	v_fma_mixlo_f16 v15, v1, v15, 0
	s_delay_alu instid0(VALU_DEP_4) | instskip(NEXT) | instid1(VALU_DEP_4)
	v_mul_f16_e32 v14, v18, v14
	v_fma_mixlo_f16 v13, v1, v13, 0
	s_delay_alu instid0(VALU_DEP_4) | instskip(NEXT) | instid1(VALU_DEP_4)
	v_mul_f16_e32 v12, v20, v12
	v_mul_f16_e32 v15, v19, v15
	s_delay_alu instid0(VALU_DEP_4) | instskip(NEXT) | instid1(VALU_DEP_4)
	v_cvt_f32_f16_e64 v14, |v14|
	v_mul_f16_e32 v13, v16, v13
	s_delay_alu instid0(VALU_DEP_4) | instskip(NEXT) | instid1(VALU_DEP_4)
	v_cvt_f32_f16_e64 v12, |v12|
	v_cvt_f32_f16_e64 v15, |v15|
	s_delay_alu instid0(VALU_DEP_3) | instskip(NEXT) | instid1(VALU_DEP_3)
	v_cvt_f32_f16_e64 v13, |v13|
	v_max3_num_f32 v9, v9, v14, v12
	v_add_nc_u32_e32 v12, s30, v10
                                        ; implicit-def: $vgpr10
	s_delay_alu instid0(VALU_DEP_2) | instskip(NEXT) | instid1(VALU_DEP_2)
	v_max3_num_f32 v9, v9, v15, v13
	v_cmpx_gt_u32_e64 s33, v12
	s_xor_b32 s37, exec_lo, s37
	s_cbranch_execz .LBB8_46
; %bb.52:                               ;   in Loop: Header=BB8_49 Depth=1
	s_clause 0x2
	global_load_b64 v[14:15], v12, s[10:11] scale_offset
	global_load_b64 v[16:17], v12, s[16:17] scale_offset
	;; [unrolled: 1-line block ×3, first 2 shown]
	s_wait_loadcnt 0x2
	s_wait_xcnt 0x0
	v_dual_lshrrev_b32 v10, 16, v14 :: v_dual_lshrrev_b32 v12, 16, v15
	s_wait_loadcnt 0x1
	v_dual_lshrrev_b32 v13, 16, v16 :: v_dual_lshrrev_b32 v20, 16, v17
	v_cvt_f32_f16_e32 v14, v14
	v_cvt_f32_f16_e32 v16, v16
	;; [unrolled: 1-line block ×3, first 2 shown]
	s_delay_alu instid0(VALU_DEP_4)
	v_cvt_f32_f16_e32 v13, v13
	v_cvt_f32_f16_e32 v15, v15
	v_cvt_f32_f16_e32 v17, v17
	v_cvt_f32_f16_e32 v12, v12
	s_wait_loadcnt 0x0
	v_dual_add_f32 v14, v14, v16 :: v_dual_lshrrev_b32 v16, 16, v18
	v_add_f32_e32 v10, v10, v13
	v_cvt_f32_f16_e32 v13, v20
	v_add_f32_e32 v15, v15, v17
	s_delay_alu instid0(VALU_DEP_4) | instskip(NEXT) | instid1(VALU_DEP_3)
	v_fma_mixlo_f16 v14, v1, v14, 0
	v_add_f32_e32 v12, v12, v13
	v_fma_mixlo_f16 v10, v1, v10, 0
	v_lshrrev_b32_e32 v13, 16, v19
	v_fma_mixlo_f16 v15, v1, v15, 0
	v_mul_f16_e32 v14, v18, v14
	v_fma_mixlo_f16 v12, v1, v12, 0
	v_mul_f16_e32 v10, v16, v10
	s_delay_alu instid0(VALU_DEP_4) | instskip(NEXT) | instid1(VALU_DEP_4)
	v_mul_f16_e32 v15, v19, v15
	v_cvt_f32_f16_e64 v14, |v14|
	s_delay_alu instid0(VALU_DEP_4) | instskip(NEXT) | instid1(VALU_DEP_4)
	v_mul_f16_e32 v12, v13, v12
	v_cvt_f32_f16_e64 v16, |v10|
	v_add3_u32 v10, s31, s28, v11
	v_cvt_f32_f16_e64 v11, |v15|
	s_delay_alu instid0(VALU_DEP_4) | instskip(NEXT) | instid1(VALU_DEP_4)
	v_cvt_f32_f16_e64 v12, |v12|
	v_max3_num_f32 v9, v9, v14, v16
	s_delay_alu instid0(VALU_DEP_4) | instskip(NEXT) | instid1(VALU_DEP_2)
	v_cmp_le_u32_e32 vcc_lo, s33, v10
	v_max3_num_f32 v9, v9, v11, v12
	s_or_not1_b32 s38, vcc_lo, exec_lo
	s_branch .LBB8_46
.LBB8_53:
	s_or_b32 exec_lo, exec_lo, s29
.LBB8_54:
	s_delay_alu instid0(SALU_CYCLE_1)
	s_or_b32 exec_lo, exec_lo, s22
	ds_bpermute_b32 v4, v4, v9
	v_or_b32_e32 v10, 0x80, v3
	s_wait_dscnt 0x0
	v_cmp_lt_f32_e32 vcc_lo, v9, v4
	v_cndmask_b32_e32 v4, v9, v4, vcc_lo
	s_delay_alu instid0(VALU_DEP_1) | instskip(SKIP_1) | instid1(SALU_CYCLE_1)
	v_cndmask_b32_e64 v4, v9, v4, s1
	s_or_b32 s1, s1, s2
	s_or_b32 s1, s3, s1
	s_delay_alu instid0(SALU_CYCLE_1)
	s_or_b32 s1, s4, s1
	ds_bpermute_b32 v5, v5, v4
	s_or_b32 s1, s5, s1
	s_wait_dscnt 0x0
	v_cmp_lt_f32_e32 vcc_lo, v4, v5
	v_cndmask_b32_e32 v5, v4, v5, vcc_lo
	s_delay_alu instid0(VALU_DEP_1) | instskip(SKIP_4) | instid1(VALU_DEP_1)
	v_cndmask_b32_e64 v4, v4, v5, s2
	ds_bpermute_b32 v5, v6, v4
	s_wait_dscnt 0x0
	v_cmp_lt_f32_e32 vcc_lo, v4, v5
	v_cndmask_b32_e32 v5, v4, v5, vcc_lo
	v_cndmask_b32_e64 v4, v4, v5, s3
	ds_bpermute_b32 v5, v7, v4
	s_wait_dscnt 0x0
	v_cmp_lt_f32_e32 vcc_lo, v4, v5
	v_cndmask_b32_e32 v5, v4, v5, vcc_lo
	s_delay_alu instid0(VALU_DEP_1) | instskip(SKIP_4) | instid1(VALU_DEP_1)
	v_cndmask_b32_e64 v4, v4, v5, s4
	ds_bpermute_b32 v5, v8, v4
	s_wait_dscnt 0x0
	v_cmp_lt_f32_e32 vcc_lo, v4, v5
	v_cndmask_b32_e32 v5, v4, v5, vcc_lo
	v_cndmask_b32_e64 v4, v4, v5, s5
	ds_bpermute_b32 v5, v10, v4
	s_wait_dscnt 0x0
	v_cmp_lt_f32_e32 vcc_lo, v4, v5
	s_and_b32 vcc_lo, s8, vcc_lo
	v_cndmask_b32_e32 v4, v4, v5, vcc_lo
	s_or_b32 vcc_lo, s8, s1
	s_delay_alu instid0(VALU_DEP_1)
	v_cndmask_b32_e32 v4, v9, v4, vcc_lo
	s_and_saveexec_b32 s1, s6
; %bb.55:
	v_lshrrev_b32_e32 v5, 4, v0
	s_delay_alu instid0(VALU_DEP_1)
	v_and_b32_e32 v5, 60, v5
	ds_store_b32 v5, v4 offset:64
; %bb.56:
	s_or_b32 exec_lo, exec_lo, s1
	s_wait_dscnt 0x0
	s_barrier_signal -1
	s_barrier_wait -1
	s_and_saveexec_b32 s3, s7
	s_cbranch_execz .LBB8_58
; %bb.57:
	ds_load_b32 v4, v3 offset:64
	v_and_b32_e32 v5, 15, v2
	s_add_co_i32 s1, s28, 63
	v_or_b32_e32 v3, 32, v3
	s_lshr_b32 s2, s1, 6
	s_delay_alu instid0(VALU_DEP_2) | instskip(SKIP_4) | instid1(VALU_DEP_3)
	v_cmp_ne_u32_e32 vcc_lo, 15, v5
	v_add_nc_u32_e32 v7, 1, v5
	v_cmp_gt_u32_e64 s1, 12, v5
	v_add_co_ci_u32_e64 v6, null, 0, v2, vcc_lo
	v_cmp_gt_u32_e32 vcc_lo, 14, v5
	v_cndmask_b32_e64 v9, 0, 4, s1
	s_delay_alu instid0(VALU_DEP_3)
	v_lshlrev_b32_e32 v6, 2, v6
	v_cndmask_b32_e64 v8, 0, 2, vcc_lo
	s_wait_dscnt 0x0
	ds_bpermute_b32 v6, v6, v4
	v_add_lshl_u32 v8, v8, v2, 2
	v_add_lshl_u32 v2, v9, v2, 2
	s_wait_dscnt 0x0
	v_cmp_lt_f32_e32 vcc_lo, v4, v6
	v_cndmask_b32_e32 v6, v4, v6, vcc_lo
	v_cmp_gt_u32_e32 vcc_lo, s2, v7
	s_delay_alu instid0(VALU_DEP_2) | instskip(SKIP_3) | instid1(VALU_DEP_1)
	v_cndmask_b32_e32 v6, v4, v6, vcc_lo
	ds_bpermute_b32 v7, v8, v6
	s_wait_dscnt 0x0
	v_cmp_lt_f32_e64 s1, v6, v7
	v_dual_cndmask_b32 v7, v6, v7, s1 :: v_dual_add_nc_u32 v8, 2, v5
	s_delay_alu instid0(VALU_DEP_1) | instskip(NEXT) | instid1(VALU_DEP_1)
	v_cmp_gt_u32_e64 s1, s2, v8
	v_dual_cndmask_b32 v6, v6, v7, s1 :: v_dual_add_nc_u32 v7, 4, v5
	v_add_nc_u32_e32 v5, 8, v5
	ds_bpermute_b32 v2, v2, v6
	s_wait_dscnt 0x0
	v_cmp_lt_f32_e64 s1, v6, v2
	s_delay_alu instid0(VALU_DEP_1) | instskip(SKIP_1) | instid1(VALU_DEP_1)
	v_cndmask_b32_e64 v2, v6, v2, s1
	v_cmp_gt_u32_e64 s1, s2, v7
	v_cndmask_b32_e64 v2, v6, v2, s1
	v_cmp_gt_u32_e64 s1, s2, v5
	ds_bpermute_b32 v3, v3, v2
	s_wait_dscnt 0x0
	v_cmp_lt_f32_e64 s2, v2, v3
	s_and_b32 s1, s1, s2
	s_delay_alu instid0(SALU_CYCLE_1) | instskip(NEXT) | instid1(VALU_DEP_1)
	v_cndmask_b32_e64 v2, v2, v3, s1
	v_cndmask_b32_e32 v4, v4, v2, vcc_lo
.LBB8_58:
	s_or_b32 exec_lo, exec_lo, s3
	s_and_saveexec_b32 s1, s9
	s_cbranch_execz .LBB8_62
; %bb.59:
	s_cmp_eq_u64 s[20:21], 0
	s_cbranch_scc1 .LBB8_61
; %bb.60:
	v_dual_mov_b32 v2, 0 :: v_dual_max_num_f32 v3, v4, v4
	global_load_b32 v2, v2, s[20:21]
	s_wait_loadcnt 0x0
	v_max_num_f32_e32 v2, v2, v2
	s_delay_alu instid0(VALU_DEP_1)
	v_min_num_f32_e32 v4, v3, v2
.LBB8_61:
	s_delay_alu instid0(VALU_DEP_1)
	v_div_scale_f32 v2, null, 0x42fe0000, 0x42fe0000, v4
	v_div_scale_f32 v6, vcc_lo, v4, 0x42fe0000, v4
	s_lshl_b64 s[2:3], s[26:27], 2
	v_rcp_f32_e32 v3, v2
	s_add_nc_u64 s[2:3], s[14:15], s[2:3]
	v_nop
	s_delay_alu instid0(TRANS32_DEP_1) | instskip(NEXT) | instid1(VALU_DEP_1)
	v_fma_f32 v5, -v2, v3, 1.0
	v_fmac_f32_e32 v3, v5, v3
	s_delay_alu instid0(VALU_DEP_1) | instskip(NEXT) | instid1(VALU_DEP_1)
	v_mul_f32_e32 v5, v6, v3
	v_fma_f32 v7, -v2, v5, v6
	s_delay_alu instid0(VALU_DEP_1) | instskip(NEXT) | instid1(VALU_DEP_1)
	v_fmac_f32_e32 v5, v7, v3
	v_fma_f32 v2, -v2, v5, v6
	s_delay_alu instid0(VALU_DEP_1) | instskip(SKIP_1) | instid1(VALU_DEP_2)
	v_div_fmas_f32 v2, v2, v3, v5
	v_mov_b32_e32 v3, 0
	v_div_fixup_f32 v2, v2, 0x42fe0000, v4
	s_delay_alu instid0(VALU_DEP_1)
	v_max_num_f32_e32 v2, 0x34000000, v2
	ds_store_b32 v3, v2 offset:260
	global_store_b32 v3, v2, s[2:3]
.LBB8_62:
	s_wait_xcnt 0x0
	s_or_b32 exec_lo, exec_lo, s1
	s_wait_storecnt_dscnt 0x0
	s_barrier_signal -1
	s_barrier_wait -1
	s_and_saveexec_b32 s1, s0
	s_cbranch_execz .LBB8_71
; %bb.63:
	v_mov_b32_e32 v2, 0
	s_add_nc_u64 s[0:1], s[12:13], s[24:25]
	s_lshl_b32 s2, s28, 1
	s_mul_i32 s3, s28, 3
	s_mov_b32 s4, 0
	ds_load_b32 v2, v2 offset:260
	s_add_co_i32 s5, s28, s28
                                        ; implicit-def: $sgpr6
	s_wait_dscnt 0x0
	v_div_scale_f32 v3, null, v2, v2, 1.0
	v_div_scale_f32 v6, vcc_lo, 1.0, v2, 1.0
	s_delay_alu instid0(VALU_DEP_2)
	v_rcp_f32_e32 v4, v3
	v_nop
	v_xor_b32_e32 v3, 0x80000000, v3
	s_delay_alu instid0(TRANS32_DEP_1) | instid1(VALU_DEP_1)
	v_fma_f32 v5, v3, v4, 1.0
	s_delay_alu instid0(VALU_DEP_1) | instskip(NEXT) | instid1(VALU_DEP_1)
	v_fmac_f32_e32 v4, v5, v4
	v_mul_f32_e32 v5, v6, v4
	s_delay_alu instid0(VALU_DEP_1) | instskip(NEXT) | instid1(VALU_DEP_1)
	v_fma_f32 v7, v3, v5, v6
	v_fmac_f32_e32 v5, v7, v4
	s_delay_alu instid0(VALU_DEP_1) | instskip(NEXT) | instid1(VALU_DEP_1)
	v_fmac_f32_e32 v6, v3, v5
	v_div_fmas_f32 v3, v6, v4, v5
	s_delay_alu instid0(VALU_DEP_1)
	v_div_fixup_f32 v2, v3, v2, 1.0
	s_branch .LBB8_67
.LBB8_64:                               ;   in Loop: Header=BB8_67 Depth=1
	s_wait_xcnt 0x0
	s_or_b32 exec_lo, exec_lo, s9
	s_delay_alu instid0(SALU_CYCLE_1)
	s_or_not1_b32 s9, s12, exec_lo
.LBB8_65:                               ;   in Loop: Header=BB8_67 Depth=1
	s_or_b32 exec_lo, exec_lo, s8
	s_delay_alu instid0(SALU_CYCLE_1) | instskip(SKIP_1) | instid1(SALU_CYCLE_1)
	s_and_not1_b32 s6, s6, exec_lo
	s_and_b32 s8, s9, exec_lo
	s_or_b32 s6, s6, s8
.LBB8_66:                               ;   in Loop: Header=BB8_67 Depth=1
	s_or_b32 exec_lo, exec_lo, s7
	s_delay_alu instid0(SALU_CYCLE_1) | instskip(NEXT) | instid1(SALU_CYCLE_1)
	s_and_b32 s7, exec_lo, s6
	s_or_b32 s4, s7, s4
	s_delay_alu instid0(SALU_CYCLE_1)
	s_and_not1_b32 exec_lo, exec_lo, s4
	s_cbranch_execz .LBB8_71
.LBB8_67:                               ; =>This Inner Loop Header: Depth=1
	s_clause 0x2
	global_load_b64 v[4:5], v0, s[10:11] scale_offset
	global_load_b64 v[6:7], v0, s[16:17] scale_offset
	;; [unrolled: 1-line block ×3, first 2 shown]
	s_or_b32 s6, s6, exec_lo
	s_mov_b32 s7, exec_lo
	s_wait_loadcnt 0x2
	v_cvt_f32_f16_e32 v10, v5
	s_wait_loadcnt 0x1
	v_dual_lshrrev_b32 v3, 16, v5 :: v_dual_lshrrev_b32 v5, 16, v7
	v_cvt_f32_f16_e32 v12, v4
	v_lshrrev_b32_e32 v13, 16, v4
	v_cvt_f32_f16_e32 v4, v7
	v_lshrrev_b32_e32 v7, 16, v6
	v_cvt_f32_f16_e32 v11, v3
	v_cvt_f32_f16_e32 v5, v5
	;; [unrolled: 1-line block ×5, first 2 shown]
	s_delay_alu instid0(VALU_DEP_4) | instskip(SKIP_2) | instid1(VALU_DEP_3)
	v_pk_add_f32 v[4:5], v[10:11], v[4:5]
	s_wait_loadcnt 0x0
	v_lshrrev_b32_e32 v10, 16, v8
	v_pk_add_f32 v[6:7], v[12:13], v[6:7]
	s_delay_alu instid0(VALU_DEP_3) | instskip(SKIP_2) | instid1(VALU_DEP_4)
	v_fma_mixlo_f16 v3, v1, v4, 0
	v_fma_mixlo_f16 v13, v1, v5, 0
	v_cvt_pk_f16_f32 v5, v4, v5
	v_fma_mixlo_f16 v11, v1, v7, 0
	v_fma_mixlo_f16 v12, v1, v6, 0
	v_mul_f16_e32 v3, v9, v3
	v_lshrrev_b32_e32 v9, 16, v9
	v_cvt_pk_f16_f32 v4, v6, v7
	v_mul_f16_e32 v10, v10, v11
	v_mul_f16_e32 v8, v8, v12
	v_cvt_f32_f16_e32 v3, v3
	v_mul_f16_e32 v9, v9, v13
	s_delay_alu instid0(VALU_DEP_4) | instskip(NEXT) | instid1(VALU_DEP_4)
	v_cvt_f32_f16_e32 v10, v10
	v_cvt_f32_f16_e32 v8, v8
	s_delay_alu instid0(VALU_DEP_4) | instskip(NEXT) | instid1(VALU_DEP_4)
	v_mul_f32_e32 v3, v2, v3
	v_cvt_f32_f16_e32 v9, v9
	s_delay_alu instid0(VALU_DEP_3) | instskip(NEXT) | instid1(VALU_DEP_3)
	v_dual_mul_f32 v10, v2, v10 :: v_dual_mul_f32 v8, v2, v8
	v_rndne_f32_e32 v3, v3
	s_delay_alu instid0(VALU_DEP_3) | instskip(NEXT) | instid1(VALU_DEP_3)
	v_mul_f32_e32 v9, v2, v9
	v_rndne_f32_e32 v10, v10
	s_delay_alu instid0(VALU_DEP_4) | instskip(NEXT) | instid1(VALU_DEP_4)
	v_rndne_f32_e32 v8, v8
	v_cmp_nlt_f32_e32 vcc_lo, 0x42fe0000, v3
	s_delay_alu instid0(VALU_DEP_4) | instskip(SKIP_4) | instid1(VALU_DEP_4)
	v_rndne_f32_e32 v9, v9
	v_cndmask_b32_e32 v11, 0x42fe0000, v3, vcc_lo
	v_cmp_nlt_f32_e32 vcc_lo, 0x42fe0000, v10
	v_cndmask_b32_e32 v12, 0x42fe0000, v10, vcc_lo
	v_cmp_ngt_f32_e32 vcc_lo, 0xc3000000, v3
	v_cndmask_b32_e32 v3, 0xc3000000, v11, vcc_lo
	v_cmp_nlt_f32_e32 vcc_lo, 0x42fe0000, v9
	s_delay_alu instid0(VALU_DEP_2) | instskip(SKIP_2) | instid1(VALU_DEP_3)
	v_cvt_i32_f32_e32 v3, v3
	v_cndmask_b32_e32 v11, 0x42fe0000, v9, vcc_lo
	v_cmp_ngt_f32_e32 vcc_lo, 0xc3000000, v10
	v_and_b32_e32 v3, 0xff, v3
	s_delay_alu instid0(VALU_DEP_1) | instskip(SKIP_1) | instid1(VALU_DEP_2)
	v_dual_cndmask_b32 v10, 0xc3000000, v12 :: v_dual_lshlrev_b32 v3, 16, v3
	v_cmp_nlt_f32_e32 vcc_lo, 0x42fe0000, v8
	v_cvt_i32_f32_e32 v10, v10
	v_cndmask_b32_e32 v12, 0x42fe0000, v8, vcc_lo
	v_cmp_ngt_f32_e32 vcc_lo, 0xc3000000, v9
	s_delay_alu instid0(VALU_DEP_3) | instskip(SKIP_2) | instid1(VALU_DEP_3)
	v_and_b32_e32 v10, 0xff, v10
	v_cndmask_b32_e32 v9, 0xc3000000, v11, vcc_lo
	v_cmp_ngt_f32_e32 vcc_lo, 0xc3000000, v8
	v_lshlrev_b32_e32 v10, 8, v10
	s_delay_alu instid0(VALU_DEP_3) | instskip(SKIP_1) | instid1(VALU_DEP_2)
	v_cvt_i32_f32_e32 v9, v9
	v_cndmask_b32_e32 v8, 0xc3000000, v12, vcc_lo
	v_lshl_or_b32 v9, v9, 24, v3
	s_delay_alu instid0(VALU_DEP_2) | instskip(SKIP_1) | instid1(VALU_DEP_2)
	v_cvt_i32_f32_e32 v8, v8
	v_add_nc_u32_e32 v3, s28, v0
	v_and_b32_e32 v8, 0xff, v8
	s_delay_alu instid0(VALU_DEP_1)
	v_or3_b32 v6, v9, v10, v8
	s_clause 0x1
	global_store_b64 v0, v[4:5], s[16:17] scale_offset
	global_store_b32 v0, v6, s[0:1] scale_offset
	s_wait_xcnt 0x0
	v_cmpx_gt_u32_e64 s33, v3
	s_cbranch_execz .LBB8_66
; %bb.68:                               ;   in Loop: Header=BB8_67 Depth=1
	s_clause 0x2
	global_load_b64 v[4:5], v3, s[10:11] scale_offset
	global_load_b64 v[6:7], v3, s[16:17] scale_offset
	;; [unrolled: 1-line block ×3, first 2 shown]
	s_mov_b32 s9, -1
	s_mov_b32 s8, exec_lo
	s_wait_loadcnt 0x2
	v_cvt_f32_f16_e32 v10, v5
	s_wait_loadcnt 0x1
	v_dual_lshrrev_b32 v5, 16, v5 :: v_dual_lshrrev_b32 v13, 16, v7
	v_cvt_f32_f16_e32 v12, v4
	v_lshrrev_b32_e32 v14, 16, v4
	v_cvt_f32_f16_e32 v4, v7
	v_lshrrev_b32_e32 v7, 16, v6
	v_cvt_f32_f16_e32 v11, v5
	v_cvt_f32_f16_e32 v5, v13
	;; [unrolled: 1-line block ×5, first 2 shown]
	s_delay_alu instid0(VALU_DEP_4) | instskip(SKIP_2) | instid1(VALU_DEP_3)
	v_pk_add_f32 v[10:11], v[10:11], v[4:5]
	s_wait_loadcnt 0x0
	v_lshrrev_b32_e32 v5, 16, v8
	v_pk_add_f32 v[6:7], v[12:13], v[6:7]
	s_delay_alu instid0(VALU_DEP_3) | instskip(SKIP_1) | instid1(VALU_DEP_3)
	v_fma_mixlo_f16 v4, v1, v10, 0
	v_fma_mixlo_f16 v14, v1, v11, 0
	v_fma_mixlo_f16 v12, v1, v7, 0
	s_delay_alu instid0(VALU_DEP_4) | instskip(NEXT) | instid1(VALU_DEP_4)
	v_fma_mixlo_f16 v13, v1, v6, 0
	v_mul_f16_e32 v4, v9, v4
	v_lshrrev_b32_e32 v9, 16, v9
	s_delay_alu instid0(VALU_DEP_4) | instskip(NEXT) | instid1(VALU_DEP_4)
	v_mul_f16_e32 v5, v5, v12
	v_mul_f16_e32 v8, v8, v13
	s_delay_alu instid0(VALU_DEP_4) | instskip(NEXT) | instid1(VALU_DEP_4)
	v_cvt_f32_f16_e32 v4, v4
	v_mul_f16_e32 v9, v9, v14
	s_delay_alu instid0(VALU_DEP_4) | instskip(NEXT) | instid1(VALU_DEP_4)
	v_cvt_f32_f16_e32 v5, v5
	v_cvt_f32_f16_e32 v8, v8
	s_delay_alu instid0(VALU_DEP_4) | instskip(NEXT) | instid1(VALU_DEP_4)
	v_mul_f32_e32 v4, v2, v4
	v_cvt_f32_f16_e32 v9, v9
	s_delay_alu instid0(VALU_DEP_3) | instskip(NEXT) | instid1(VALU_DEP_3)
	v_dual_mul_f32 v5, v2, v5 :: v_dual_mul_f32 v8, v2, v8
	v_rndne_f32_e32 v4, v4
	s_delay_alu instid0(VALU_DEP_3) | instskip(NEXT) | instid1(VALU_DEP_3)
	v_mul_f32_e32 v9, v2, v9
	v_rndne_f32_e32 v5, v5
	s_delay_alu instid0(VALU_DEP_4) | instskip(NEXT) | instid1(VALU_DEP_4)
	v_rndne_f32_e32 v8, v8
	v_cmp_nlt_f32_e32 vcc_lo, 0x42fe0000, v4
	s_delay_alu instid0(VALU_DEP_4) | instskip(SKIP_4) | instid1(VALU_DEP_4)
	v_rndne_f32_e32 v9, v9
	v_cndmask_b32_e32 v12, 0x42fe0000, v4, vcc_lo
	v_cmp_nlt_f32_e32 vcc_lo, 0x42fe0000, v5
	v_cndmask_b32_e32 v13, 0x42fe0000, v5, vcc_lo
	v_cmp_ngt_f32_e32 vcc_lo, 0xc3000000, v4
	v_cndmask_b32_e32 v4, 0xc3000000, v12, vcc_lo
	v_cmp_nlt_f32_e32 vcc_lo, 0x42fe0000, v9
	s_delay_alu instid0(VALU_DEP_2) | instskip(SKIP_2) | instid1(VALU_DEP_3)
	v_cvt_i32_f32_e32 v4, v4
	v_cndmask_b32_e32 v12, 0x42fe0000, v9, vcc_lo
	v_cmp_ngt_f32_e32 vcc_lo, 0xc3000000, v5
	v_and_b32_e32 v4, 0xff, v4
	s_delay_alu instid0(VALU_DEP_1) | instskip(SKIP_1) | instid1(VALU_DEP_2)
	v_dual_cndmask_b32 v5, 0xc3000000, v13 :: v_dual_lshlrev_b32 v4, 16, v4
	v_cmp_nlt_f32_e32 vcc_lo, 0x42fe0000, v8
	v_cvt_i32_f32_e32 v5, v5
	s_delay_alu instid0(VALU_DEP_1)
	v_and_b32_e32 v5, 0xff, v5
	v_cndmask_b32_e32 v13, 0x42fe0000, v8, vcc_lo
	v_cmp_ngt_f32_e32 vcc_lo, 0xc3000000, v9
	v_cndmask_b32_e32 v9, 0xc3000000, v12, vcc_lo
	v_cmp_ngt_f32_e32 vcc_lo, 0xc3000000, v8
	v_dual_lshlrev_b32 v12, 8, v5 :: v_dual_add_nc_u32 v5, s2, v0
	s_delay_alu instid0(VALU_DEP_3) | instskip(SKIP_1) | instid1(VALU_DEP_2)
	v_cvt_i32_f32_e32 v9, v9
	v_cndmask_b32_e32 v8, 0xc3000000, v13, vcc_lo
	v_lshl_or_b32 v4, v9, 24, v4
	s_delay_alu instid0(VALU_DEP_2) | instskip(SKIP_1) | instid1(VALU_DEP_2)
	v_cvt_i32_f32_e32 v8, v8
	v_cvt_pk_f16_f32 v9, v10, v11
	v_and_b32_e32 v13, 0xff, v8
	v_cvt_pk_f16_f32 v8, v6, v7
	s_delay_alu instid0(VALU_DEP_2)
	v_or3_b32 v4, v4, v12, v13
	s_clause 0x1
	global_store_b64 v3, v[8:9], s[16:17] scale_offset
	global_store_b32 v3, v4, s[0:1] scale_offset
	s_wait_xcnt 0x0
	v_cmpx_gt_u32_e64 s33, v5
	s_cbranch_execz .LBB8_65
; %bb.69:                               ;   in Loop: Header=BB8_67 Depth=1
	s_clause 0x2
	global_load_b64 v[6:7], v5, s[10:11] scale_offset
	global_load_b64 v[8:9], v5, s[16:17] scale_offset
	;; [unrolled: 1-line block ×3, first 2 shown]
	s_mov_b32 s12, -1
	s_mov_b32 s9, exec_lo
	s_wait_loadcnt 0x2
	v_cvt_f32_f16_e32 v12, v7
	s_wait_loadcnt 0x1
	v_dual_lshrrev_b32 v4, 16, v7 :: v_dual_lshrrev_b32 v7, 16, v9
	v_cvt_f32_f16_e32 v14, v6
	v_lshrrev_b32_e32 v15, 16, v6
	v_cvt_f32_f16_e32 v6, v9
	v_lshrrev_b32_e32 v9, 16, v8
	v_cvt_f32_f16_e32 v13, v4
	v_cvt_f32_f16_e32 v7, v7
	v_cvt_f32_f16_e32 v8, v8
	v_cvt_f32_f16_e32 v15, v15
	v_cvt_f32_f16_e32 v9, v9
	s_delay_alu instid0(VALU_DEP_4) | instskip(SKIP_2) | instid1(VALU_DEP_3)
	v_pk_add_f32 v[6:7], v[12:13], v[6:7]
	s_wait_loadcnt 0x0
	v_lshrrev_b32_e32 v12, 16, v10
	v_pk_add_f32 v[8:9], v[14:15], v[8:9]
	s_delay_alu instid0(VALU_DEP_3) | instskip(SKIP_2) | instid1(VALU_DEP_4)
	v_fma_mixlo_f16 v4, v1, v6, 0
	v_fma_mixlo_f16 v15, v1, v7, 0
	v_cvt_pk_f16_f32 v7, v6, v7
	v_fma_mixlo_f16 v13, v1, v9, 0
	v_fma_mixlo_f16 v14, v1, v8, 0
	v_mul_f16_e32 v4, v11, v4
	v_lshrrev_b32_e32 v11, 16, v11
	v_cvt_pk_f16_f32 v6, v8, v9
	v_mul_f16_e32 v12, v12, v13
	v_mul_f16_e32 v10, v10, v14
	v_cvt_f32_f16_e32 v4, v4
	v_mul_f16_e32 v11, v11, v15
	s_delay_alu instid0(VALU_DEP_4) | instskip(NEXT) | instid1(VALU_DEP_4)
	v_cvt_f32_f16_e32 v12, v12
	v_cvt_f32_f16_e32 v10, v10
	s_delay_alu instid0(VALU_DEP_4) | instskip(NEXT) | instid1(VALU_DEP_4)
	v_mul_f32_e32 v4, v2, v4
	v_cvt_f32_f16_e32 v11, v11
	s_delay_alu instid0(VALU_DEP_3) | instskip(NEXT) | instid1(VALU_DEP_3)
	v_dual_mul_f32 v12, v2, v12 :: v_dual_mul_f32 v10, v2, v10
	v_rndne_f32_e32 v4, v4
	s_delay_alu instid0(VALU_DEP_3) | instskip(NEXT) | instid1(VALU_DEP_3)
	v_mul_f32_e32 v11, v2, v11
	v_rndne_f32_e32 v12, v12
	s_delay_alu instid0(VALU_DEP_4) | instskip(NEXT) | instid1(VALU_DEP_4)
	v_rndne_f32_e32 v10, v10
	v_cmp_nlt_f32_e32 vcc_lo, 0x42fe0000, v4
	s_delay_alu instid0(VALU_DEP_4) | instskip(SKIP_4) | instid1(VALU_DEP_4)
	v_rndne_f32_e32 v11, v11
	v_cndmask_b32_e32 v13, 0x42fe0000, v4, vcc_lo
	v_cmp_nlt_f32_e32 vcc_lo, 0x42fe0000, v12
	v_cndmask_b32_e32 v14, 0x42fe0000, v12, vcc_lo
	v_cmp_ngt_f32_e32 vcc_lo, 0xc3000000, v4
	v_cndmask_b32_e32 v4, 0xc3000000, v13, vcc_lo
	v_cmp_nlt_f32_e32 vcc_lo, 0x42fe0000, v11
	s_delay_alu instid0(VALU_DEP_2) | instskip(SKIP_2) | instid1(VALU_DEP_3)
	v_cvt_i32_f32_e32 v4, v4
	v_cndmask_b32_e32 v13, 0x42fe0000, v11, vcc_lo
	v_cmp_ngt_f32_e32 vcc_lo, 0xc3000000, v12
	v_and_b32_e32 v4, 0xff, v4
	v_cndmask_b32_e32 v12, 0xc3000000, v14, vcc_lo
	v_cmp_nlt_f32_e32 vcc_lo, 0x42fe0000, v10
	s_delay_alu instid0(VALU_DEP_3) | instskip(NEXT) | instid1(VALU_DEP_3)
	v_lshlrev_b32_e32 v4, 16, v4
	v_cvt_i32_f32_e32 v12, v12
	v_cndmask_b32_e32 v14, 0x42fe0000, v10, vcc_lo
	v_cmp_ngt_f32_e32 vcc_lo, 0xc3000000, v11
	s_delay_alu instid0(VALU_DEP_3) | instskip(NEXT) | instid1(VALU_DEP_1)
	v_and_b32_e32 v12, 0xff, v12
	v_dual_cndmask_b32 v11, 0xc3000000, v13 :: v_dual_lshlrev_b32 v12, 8, v12
	v_cmp_ngt_f32_e32 vcc_lo, 0xc3000000, v10
	s_delay_alu instid0(VALU_DEP_2) | instskip(SKIP_1) | instid1(VALU_DEP_2)
	v_cvt_i32_f32_e32 v11, v11
	v_cndmask_b32_e32 v10, 0xc3000000, v14, vcc_lo
	v_lshl_or_b32 v11, v11, 24, v4
	s_delay_alu instid0(VALU_DEP_2) | instskip(SKIP_1) | instid1(VALU_DEP_2)
	v_cvt_i32_f32_e32 v10, v10
	v_add_nc_u32_e32 v4, s3, v0
	v_and_b32_e32 v10, 0xff, v10
	s_delay_alu instid0(VALU_DEP_1)
	v_or3_b32 v0, v11, v12, v10
	s_clause 0x1
	global_store_b64 v5, v[6:7], s[16:17] scale_offset
	global_store_b32 v5, v0, s[0:1] scale_offset
                                        ; implicit-def: $vgpr0
	s_wait_xcnt 0x0
	v_cmpx_gt_u32_e64 s33, v4
	s_cbranch_execz .LBB8_64
; %bb.70:                               ;   in Loop: Header=BB8_67 Depth=1
	s_clause 0x2
	global_load_b64 v[6:7], v4, s[10:11] scale_offset
	global_load_b64 v[8:9], v4, s[16:17] scale_offset
	;; [unrolled: 1-line block ×3, first 2 shown]
	s_wait_loadcnt 0x1
	v_dual_lshrrev_b32 v0, 16, v7 :: v_dual_lshrrev_b32 v5, 16, v9
	v_cvt_f32_f16_e32 v12, v7
	v_cvt_f32_f16_e32 v14, v6
	v_lshrrev_b32_e32 v15, 16, v6
	v_cvt_f32_f16_e32 v6, v9
	v_lshrrev_b32_e32 v9, 16, v8
	v_cvt_f32_f16_e32 v13, v0
	v_cvt_f32_f16_e32 v7, v5
	;; [unrolled: 1-line block ×5, first 2 shown]
	s_wait_loadcnt 0x0
	v_lshrrev_b32_e32 v5, 16, v10
	v_pk_add_f32 v[6:7], v[12:13], v[6:7]
	s_delay_alu instid0(VALU_DEP_3) | instskip(NEXT) | instid1(VALU_DEP_2)
	v_pk_add_f32 v[8:9], v[14:15], v[8:9]
	v_fma_mixlo_f16 v0, v1, v6, 0
	s_delay_alu instid0(VALU_DEP_3) | instskip(SKIP_1) | instid1(VALU_DEP_4)
	v_fma_mixlo_f16 v14, v1, v7, 0
	v_cvt_pk_f16_f32 v7, v6, v7
	v_fma_mixlo_f16 v12, v1, v9, 0
	v_fma_mixlo_f16 v13, v1, v8, 0
	v_mul_f16_e32 v0, v11, v0
	v_lshrrev_b32_e32 v11, 16, v11
	v_cvt_pk_f16_f32 v6, v8, v9
	v_mul_f16_e32 v5, v5, v12
	v_mul_f16_e32 v10, v10, v13
	v_cvt_f32_f16_e32 v0, v0
	v_mul_f16_e32 v11, v11, v14
	s_delay_alu instid0(VALU_DEP_4) | instskip(NEXT) | instid1(VALU_DEP_4)
	v_cvt_f32_f16_e32 v5, v5
	v_cvt_f32_f16_e32 v10, v10
	s_delay_alu instid0(VALU_DEP_4) | instskip(NEXT) | instid1(VALU_DEP_4)
	v_mul_f32_e32 v0, v2, v0
	v_cvt_f32_f16_e32 v11, v11
	s_delay_alu instid0(VALU_DEP_3) | instskip(NEXT) | instid1(VALU_DEP_3)
	v_dual_mul_f32 v5, v2, v5 :: v_dual_mul_f32 v10, v2, v10
	v_rndne_f32_e32 v0, v0
	s_delay_alu instid0(VALU_DEP_3) | instskip(NEXT) | instid1(VALU_DEP_3)
	v_mul_f32_e32 v11, v2, v11
	v_rndne_f32_e32 v5, v5
	s_delay_alu instid0(VALU_DEP_4) | instskip(NEXT) | instid1(VALU_DEP_4)
	v_rndne_f32_e32 v10, v10
	v_cmp_nlt_f32_e32 vcc_lo, 0x42fe0000, v0
	s_delay_alu instid0(VALU_DEP_4) | instskip(SKIP_4) | instid1(VALU_DEP_4)
	v_rndne_f32_e32 v11, v11
	v_cndmask_b32_e32 v12, 0x42fe0000, v0, vcc_lo
	v_cmp_nlt_f32_e32 vcc_lo, 0x42fe0000, v5
	v_cndmask_b32_e32 v13, 0x42fe0000, v5, vcc_lo
	v_cmp_ngt_f32_e32 vcc_lo, 0xc3000000, v0
	v_cndmask_b32_e32 v0, 0xc3000000, v12, vcc_lo
	v_cmp_nlt_f32_e32 vcc_lo, 0x42fe0000, v11
	s_delay_alu instid0(VALU_DEP_2) | instskip(SKIP_2) | instid1(VALU_DEP_3)
	v_cvt_i32_f32_e32 v0, v0
	v_cndmask_b32_e32 v12, 0x42fe0000, v11, vcc_lo
	v_cmp_ngt_f32_e32 vcc_lo, 0xc3000000, v5
	v_and_b32_e32 v0, 0xff, v0
	v_cndmask_b32_e32 v5, 0xc3000000, v13, vcc_lo
	v_cmp_nlt_f32_e32 vcc_lo, 0x42fe0000, v10
	s_delay_alu instid0(VALU_DEP_2) | instskip(SKIP_2) | instid1(VALU_DEP_3)
	v_cvt_i32_f32_e32 v5, v5
	v_cndmask_b32_e32 v13, 0x42fe0000, v10, vcc_lo
	v_cmp_ngt_f32_e32 vcc_lo, 0xc3000000, v11
	v_and_b32_e32 v5, 0xff, v5
	v_cndmask_b32_e32 v11, 0xc3000000, v12, vcc_lo
	v_cmp_ngt_f32_e32 vcc_lo, 0xc3000000, v10
	v_lshlrev_b32_e32 v12, 16, v0
	v_add3_u32 v0, s5, s28, v3
	v_lshlrev_b32_e32 v3, 8, v5
	v_cvt_i32_f32_e32 v11, v11
	v_cndmask_b32_e32 v10, 0xc3000000, v13, vcc_lo
	s_delay_alu instid0(VALU_DEP_4) | instskip(NEXT) | instid1(VALU_DEP_3)
	v_cmp_le_u32_e32 vcc_lo, s33, v0
	v_lshl_or_b32 v5, v11, 24, v12
	s_delay_alu instid0(VALU_DEP_3) | instskip(SKIP_1) | instid1(VALU_DEP_1)
	v_cvt_i32_f32_e32 v10, v10
	s_or_not1_b32 s12, vcc_lo, exec_lo
	v_and_b32_e32 v10, 0xff, v10
	s_delay_alu instid0(VALU_DEP_1)
	v_or3_b32 v3, v5, v3, v10
	s_clause 0x1
	global_store_b64 v4, v[6:7], s[16:17] scale_offset
	global_store_b32 v4, v3, s[0:1] scale_offset
	s_branch .LBB8_64
.LBB8_71:
	s_endpgm
	.section	.rodata,"a",@progbits
	.p2align	6, 0x0
	.amdhsa_kernel _ZN4vllm39rms_norm_dynamic_per_token_quant_kernelIN3c104HalfEaLb1EEEvPT0_PfPKT_S8_PKffiPS6_
		.amdhsa_group_segment_fixed_size 272
		.amdhsa_private_segment_fixed_size 0
		.amdhsa_kernarg_size 312
		.amdhsa_user_sgpr_count 2
		.amdhsa_user_sgpr_dispatch_ptr 0
		.amdhsa_user_sgpr_queue_ptr 0
		.amdhsa_user_sgpr_kernarg_segment_ptr 1
		.amdhsa_user_sgpr_dispatch_id 0
		.amdhsa_user_sgpr_kernarg_preload_length 0
		.amdhsa_user_sgpr_kernarg_preload_offset 0
		.amdhsa_user_sgpr_private_segment_size 0
		.amdhsa_wavefront_size32 1
		.amdhsa_uses_dynamic_stack 0
		.amdhsa_enable_private_segment 0
		.amdhsa_system_sgpr_workgroup_id_x 1
		.amdhsa_system_sgpr_workgroup_id_y 0
		.amdhsa_system_sgpr_workgroup_id_z 0
		.amdhsa_system_sgpr_workgroup_info 0
		.amdhsa_system_vgpr_workitem_id 0
		.amdhsa_next_free_vgpr 22
		.amdhsa_next_free_sgpr 40
		.amdhsa_named_barrier_count 0
		.amdhsa_reserve_vcc 1
		.amdhsa_float_round_mode_32 0
		.amdhsa_float_round_mode_16_64 0
		.amdhsa_float_denorm_mode_32 3
		.amdhsa_float_denorm_mode_16_64 3
		.amdhsa_fp16_overflow 0
		.amdhsa_memory_ordered 1
		.amdhsa_forward_progress 1
		.amdhsa_inst_pref_size 70
		.amdhsa_round_robin_scheduling 0
		.amdhsa_exception_fp_ieee_invalid_op 0
		.amdhsa_exception_fp_denorm_src 0
		.amdhsa_exception_fp_ieee_div_zero 0
		.amdhsa_exception_fp_ieee_overflow 0
		.amdhsa_exception_fp_ieee_underflow 0
		.amdhsa_exception_fp_ieee_inexact 0
		.amdhsa_exception_int_div_zero 0
	.end_amdhsa_kernel
	.section	.text._ZN4vllm39rms_norm_dynamic_per_token_quant_kernelIN3c104HalfEaLb1EEEvPT0_PfPKT_S8_PKffiPS6_,"axG",@progbits,_ZN4vllm39rms_norm_dynamic_per_token_quant_kernelIN3c104HalfEaLb1EEEvPT0_PfPKT_S8_PKffiPS6_,comdat
.Lfunc_end8:
	.size	_ZN4vllm39rms_norm_dynamic_per_token_quant_kernelIN3c104HalfEaLb1EEEvPT0_PfPKT_S8_PKffiPS6_, .Lfunc_end8-_ZN4vllm39rms_norm_dynamic_per_token_quant_kernelIN3c104HalfEaLb1EEEvPT0_PfPKT_S8_PKffiPS6_
                                        ; -- End function
	.set _ZN4vllm39rms_norm_dynamic_per_token_quant_kernelIN3c104HalfEaLb1EEEvPT0_PfPKT_S8_PKffiPS6_.num_vgpr, 22
	.set _ZN4vllm39rms_norm_dynamic_per_token_quant_kernelIN3c104HalfEaLb1EEEvPT0_PfPKT_S8_PKffiPS6_.num_agpr, 0
	.set _ZN4vllm39rms_norm_dynamic_per_token_quant_kernelIN3c104HalfEaLb1EEEvPT0_PfPKT_S8_PKffiPS6_.numbered_sgpr, 40
	.set _ZN4vllm39rms_norm_dynamic_per_token_quant_kernelIN3c104HalfEaLb1EEEvPT0_PfPKT_S8_PKffiPS6_.num_named_barrier, 0
	.set _ZN4vllm39rms_norm_dynamic_per_token_quant_kernelIN3c104HalfEaLb1EEEvPT0_PfPKT_S8_PKffiPS6_.private_seg_size, 0
	.set _ZN4vllm39rms_norm_dynamic_per_token_quant_kernelIN3c104HalfEaLb1EEEvPT0_PfPKT_S8_PKffiPS6_.uses_vcc, 1
	.set _ZN4vllm39rms_norm_dynamic_per_token_quant_kernelIN3c104HalfEaLb1EEEvPT0_PfPKT_S8_PKffiPS6_.uses_flat_scratch, 0
	.set _ZN4vllm39rms_norm_dynamic_per_token_quant_kernelIN3c104HalfEaLb1EEEvPT0_PfPKT_S8_PKffiPS6_.has_dyn_sized_stack, 0
	.set _ZN4vllm39rms_norm_dynamic_per_token_quant_kernelIN3c104HalfEaLb1EEEvPT0_PfPKT_S8_PKffiPS6_.has_recursion, 0
	.set _ZN4vllm39rms_norm_dynamic_per_token_quant_kernelIN3c104HalfEaLb1EEEvPT0_PfPKT_S8_PKffiPS6_.has_indirect_call, 0
	.section	.AMDGPU.csdata,"",@progbits
; Kernel info:
; codeLenInByte = 8944
; TotalNumSgprs: 42
; NumVgprs: 22
; ScratchSize: 0
; MemoryBound: 0
; FloatMode: 240
; IeeeMode: 1
; LDSByteSize: 272 bytes/workgroup (compile time only)
; SGPRBlocks: 0
; VGPRBlocks: 1
; NumSGPRsForWavesPerEU: 42
; NumVGPRsForWavesPerEU: 22
; NamedBarCnt: 0
; Occupancy: 16
; WaveLimiterHint : 0
; COMPUTE_PGM_RSRC2:SCRATCH_EN: 0
; COMPUTE_PGM_RSRC2:USER_SGPR: 2
; COMPUTE_PGM_RSRC2:TRAP_HANDLER: 0
; COMPUTE_PGM_RSRC2:TGID_X_EN: 1
; COMPUTE_PGM_RSRC2:TGID_Y_EN: 0
; COMPUTE_PGM_RSRC2:TGID_Z_EN: 0
; COMPUTE_PGM_RSRC2:TIDIG_COMP_CNT: 0
	.section	.text._ZN4vllm39rms_norm_dynamic_per_token_quant_kernelIN3c104HalfENS1_13Float8_e4m3fnELb0EEEvPT0_PfPKT_S9_PKffiPS7_,"axG",@progbits,_ZN4vllm39rms_norm_dynamic_per_token_quant_kernelIN3c104HalfENS1_13Float8_e4m3fnELb0EEEvPT0_PfPKT_S9_PKffiPS7_,comdat
	.protected	_ZN4vllm39rms_norm_dynamic_per_token_quant_kernelIN3c104HalfENS1_13Float8_e4m3fnELb0EEEvPT0_PfPKT_S9_PKffiPS7_ ; -- Begin function _ZN4vllm39rms_norm_dynamic_per_token_quant_kernelIN3c104HalfENS1_13Float8_e4m3fnELb0EEEvPT0_PfPKT_S9_PKffiPS7_
	.globl	_ZN4vllm39rms_norm_dynamic_per_token_quant_kernelIN3c104HalfENS1_13Float8_e4m3fnELb0EEEvPT0_PfPKT_S9_PKffiPS7_
	.p2align	8
	.type	_ZN4vllm39rms_norm_dynamic_per_token_quant_kernelIN3c104HalfENS1_13Float8_e4m3fnELb0EEEvPT0_PfPKT_S9_PKffiPS7_,@function
_ZN4vllm39rms_norm_dynamic_per_token_quant_kernelIN3c104HalfENS1_13Float8_e4m3fnELb0EEEvPT0_PfPKT_S9_PKffiPS7_: ; @_ZN4vllm39rms_norm_dynamic_per_token_quant_kernelIN3c104HalfENS1_13Float8_e4m3fnELb0EEEvPT0_PfPKT_S9_PKffiPS7_
; %bb.0:
	s_clause 0x1
	s_load_b128 s[20:23], s[0:1], 0x20
	s_load_b256 s[12:19], s[0:1], 0x0
	s_getreg_b32 s26, hwreg(HW_REG_IB_STS2, 6, 4)
	s_wait_kmcnt 0x0
	s_and_b32 s2, s23, 3
	s_delay_alu instid0(SALU_CYCLE_1)
	s_cmp_lg_u32 s2, 0
	s_cbranch_scc0 .LBB9_37
; %bb.1:
	s_bfe_u32 s2, ttmp6, 0x4000c
	s_and_b32 s3, ttmp6, 15
	s_add_co_i32 s2, s2, 1
	s_delay_alu instid0(SALU_CYCLE_1)
	s_mul_i32 s4, ttmp9, s2
	v_cmp_gt_u32_e64 s2, s23, v0
	s_add_co_i32 s4, s3, s4
	v_cmp_le_u32_e64 s3, s23, v0
	s_cmp_eq_u32 s26, 0
	s_cselect_b32 s24, ttmp9, s4
                                        ; implicit-def: $sgpr4_sgpr5
	s_and_saveexec_b32 s6, s3
	s_delay_alu instid0(SALU_CYCLE_1)
	s_xor_b32 s6, exec_lo, s6
; %bb.2:
	s_add_nc_u64 s[4:5], s[0:1], 56
; %bb.3:
	s_or_saveexec_b32 s8, s6
	v_mov_b64_e32 v[2:3], s[4:5]
	v_mov_b32_e32 v4, 0
	s_xor_b32 exec_lo, exec_lo, s8
	s_cbranch_execz .LBB9_7
; %bb.4:
	s_load_b32 s9, s[0:1], 0x44
	s_ashr_i32 s5, s23, 31
	s_mov_b32 s4, s23
	s_mov_b32 s25, 0
	v_dual_mov_b32 v4, 0 :: v_dual_mov_b32 v1, v0
	s_mul_u64 s[4:5], s[4:5], s[24:25]
	s_delay_alu instid0(SALU_CYCLE_1) | instskip(NEXT) | instid1(SALU_CYCLE_1)
	s_lshl_b64 s[4:5], s[4:5], 1
	s_add_nc_u64 s[6:7], s[16:17], s[4:5]
	s_add_nc_u64 s[4:5], s[0:1], 56
	s_wait_kmcnt 0x0
	s_and_b32 s9, s9, 0xffff
.LBB9_5:                                ; =>This Inner Loop Header: Depth=1
	global_load_u16 v2, v1, s[6:7] scale_offset
	s_wait_xcnt 0x0
	v_add_nc_u32_e32 v1, s9, v1
	s_delay_alu instid0(VALU_DEP_1)
	v_cmp_le_u32_e32 vcc_lo, s23, v1
	s_or_b32 s25, vcc_lo, s25
	s_wait_loadcnt 0x0
	v_fma_mix_f32 v4, v2, v2, v4 op_sel_hi:[1,1,0]
	s_and_not1_b32 exec_lo, exec_lo, s25
	s_cbranch_execnz .LBB9_5
; %bb.6:
	s_or_b32 exec_lo, exec_lo, s25
	v_mov_b64_e32 v[2:3], s[4:5]
.LBB9_7:
	s_or_b32 exec_lo, exec_lo, s8
	global_load_b32 v1, v[2:3], off
	v_mov_b32_e32 v7, 0
	v_and_b32_e32 v10, 0x3c0, v0
	s_wait_loadcnt 0x0
	v_cmp_lt_u32_e32 vcc_lo, s24, v1
	v_mbcnt_lo_u32_b32 v1, -1, 0
	v_cndmask_b32_e64 v6, 18, 12, vcc_lo
	s_delay_alu instid0(VALU_DEP_2) | instskip(SKIP_2) | instid1(VALU_DEP_4)
	v_cmp_ne_u32_e32 vcc_lo, 63, v1
	v_cmp_eq_u32_e64 s4, 0, v1
	v_dual_add_nc_u32 v13, 2, v1 :: v_dual_add_nc_u32 v15, 4, v1
	v_add_nc_u64_e32 v[2:3], v[2:3], v[6:7]
	v_dual_add_nc_u32 v18, 8, v1 :: v_dual_add_nc_u32 v17, 16, v1
	v_dual_lshlrev_b32 v7, 2, v1 :: v_dual_bitop2_b32 v19, 32, v1 bitop3:0x54
	global_load_u16 v2, v[2:3], off
	s_wait_xcnt 0x0
	v_add_co_ci_u32_e64 v3, null, 0, v1, vcc_lo
	v_cmp_gt_u32_e32 vcc_lo, 62, v1
	s_delay_alu instid0(VALU_DEP_2)
	v_lshlrev_b32_e32 v9, 2, v3
	v_cndmask_b32_e64 v5, 0, 2, vcc_lo
	ds_bpermute_b32 v3, v9, v4
	v_add_nc_u32_e32 v8, 1, v1
	v_add_lshl_u32 v11, v5, v1, 2
	s_wait_dscnt 0x0
	v_add_f32_e32 v3, v4, v3
	s_wait_loadcnt 0x0
	v_sub_nc_u32_e64 v6, v2, v10 clamp
	s_delay_alu instid0(VALU_DEP_1) | instskip(NEXT) | instid1(VALU_DEP_3)
	v_cmp_lt_u32_e32 vcc_lo, v8, v6
	v_cndmask_b32_e32 v3, v4, v3, vcc_lo
	v_cmp_gt_u32_e32 vcc_lo, 60, v1
	ds_bpermute_b32 v4, v11, v3
	v_cndmask_b32_e64 v5, 0, 4, vcc_lo
	v_cmp_lt_u32_e32 vcc_lo, v13, v6
	s_delay_alu instid0(VALU_DEP_2) | instskip(SKIP_2) | instid1(VALU_DEP_1)
	v_add_lshl_u32 v12, v5, v1, 2
	s_wait_dscnt 0x0
	v_add_f32_e32 v4, v3, v4
	v_cndmask_b32_e32 v3, v3, v4, vcc_lo
	v_cmp_gt_u32_e32 vcc_lo, 56, v1
	ds_bpermute_b32 v4, v12, v3
	v_cndmask_b32_e64 v5, 0, 8, vcc_lo
	v_cmp_lt_u32_e32 vcc_lo, v15, v6
	s_delay_alu instid0(VALU_DEP_2) | instskip(SKIP_2) | instid1(VALU_DEP_1)
	v_add_lshl_u32 v14, v5, v1, 2
	s_wait_dscnt 0x0
	v_add_f32_e32 v4, v3, v4
	;; [unrolled: 9-line block ×3, first 2 shown]
	v_cndmask_b32_e32 v3, v3, v4, vcc_lo
	v_cmp_lt_u32_e32 vcc_lo, v17, v6
	ds_bpermute_b32 v4, v16, v3
	s_wait_dscnt 0x0
	v_add_f32_e32 v4, v3, v4
	s_delay_alu instid0(VALU_DEP_1) | instskip(SKIP_4) | instid1(VALU_DEP_1)
	v_cndmask_b32_e32 v3, v3, v4, vcc_lo
	v_cmp_lt_u32_e32 vcc_lo, v19, v6
	ds_bpermute_b32 v4, v7, v3 offset:128
	s_wait_dscnt 0x0
	v_add_f32_e32 v4, v3, v4
	v_cndmask_b32_e32 v3, v3, v4, vcc_lo
	s_and_saveexec_b32 s5, s4
; %bb.8:
	v_lshrrev_b32_e32 v4, 4, v0
	s_delay_alu instid0(VALU_DEP_1)
	v_and_b32_e32 v4, 60, v4
	ds_store_b32 v4, v3 offset:128
; %bb.9:
	s_or_b32 exec_lo, exec_lo, s5
	v_cmp_gt_u32_e64 s5, 16, v0
	v_and_b32_e32 v4, 15, v1
	v_or_b32_e32 v5, 32, v7
	s_wait_dscnt 0x0
	s_barrier_signal -1
	s_barrier_wait -1
	s_and_saveexec_b32 s7, s5
	s_cbranch_execz .LBB9_11
; %bb.10:
	ds_load_b32 v3, v7 offset:128
	v_cmp_ne_u32_e32 vcc_lo, 15, v4
	v_add_nc_u32_e32 v2, 63, v2
	v_cmp_gt_u32_e64 s6, 12, v4
	v_add_nc_u32_e32 v20, 1, v4
	v_add_co_ci_u32_e64 v6, null, 0, v1, vcc_lo
	v_cmp_gt_u32_e32 vcc_lo, 14, v4
	v_lshrrev_b32_e32 v2, 6, v2
	v_cndmask_b32_e64 v22, 0, 4, s6
	s_delay_alu instid0(VALU_DEP_4) | instskip(SKIP_1) | instid1(VALU_DEP_4)
	v_lshlrev_b32_e32 v6, 2, v6
	v_cndmask_b32_e64 v21, 0, 2, vcc_lo
	v_cmp_lt_u32_e32 vcc_lo, v20, v2
	s_delay_alu instid0(VALU_DEP_2) | instskip(SKIP_4) | instid1(VALU_DEP_1)
	v_add_lshl_u32 v21, v21, v1, 2
	s_wait_dscnt 0x0
	ds_bpermute_b32 v6, v6, v3
	s_wait_dscnt 0x0
	v_add_f32_e32 v6, v3, v6
	v_cndmask_b32_e32 v6, v3, v6, vcc_lo
	ds_bpermute_b32 v20, v21, v6
	v_add_nc_u32_e32 v21, 2, v4
	s_wait_dscnt 0x0
	v_add_f32_e32 v20, v6, v20
	s_delay_alu instid0(VALU_DEP_2) | instskip(SKIP_1) | instid1(VALU_DEP_2)
	v_cmp_lt_u32_e64 s6, v21, v2
	v_add_nc_u32_e32 v21, 4, v4
	v_cndmask_b32_e64 v6, v6, v20, s6
	v_add_lshl_u32 v20, v22, v1, 2
	s_delay_alu instid0(VALU_DEP_3) | instskip(SKIP_4) | instid1(VALU_DEP_1)
	v_cmp_lt_u32_e64 s6, v21, v2
	v_add_nc_u32_e32 v21, 8, v4
	ds_bpermute_b32 v20, v20, v6
	s_wait_dscnt 0x0
	v_add_f32_e32 v20, v6, v20
	v_cndmask_b32_e64 v6, v6, v20, s6
	v_cmp_lt_u32_e64 s6, v21, v2
	ds_bpermute_b32 v20, v5, v6
	s_wait_dscnt 0x0
	v_add_f32_e32 v20, v6, v20
	s_delay_alu instid0(VALU_DEP_1) | instskip(NEXT) | instid1(VALU_DEP_1)
	v_cndmask_b32_e64 v2, v6, v20, s6
	v_cndmask_b32_e32 v3, v3, v2, vcc_lo
.LBB9_11:
	s_or_b32 exec_lo, exec_lo, s7
	v_cmp_eq_u32_e64 s6, 0, v0
	s_mov_b32 s25, 0
	s_and_saveexec_b32 s7, s6
	s_cbranch_execz .LBB9_13
; %bb.12:
	s_cvt_f32_i32 s8, s23
	s_delay_alu instid0(SALU_CYCLE_3) | instskip(SKIP_1) | instid1(VALU_DEP_2)
	v_div_scale_f32 v2, null, s8, s8, v3
	v_div_scale_f32 v21, vcc_lo, v3, s8, v3
	v_rcp_f32_e32 v6, v2
	v_nop
	s_delay_alu instid0(TRANS32_DEP_1) | instskip(NEXT) | instid1(VALU_DEP_1)
	v_fma_f32 v20, -v2, v6, 1.0
	v_fmac_f32_e32 v6, v20, v6
	s_delay_alu instid0(VALU_DEP_1) | instskip(NEXT) | instid1(VALU_DEP_1)
	v_mul_f32_e32 v20, v21, v6
	v_fma_f32 v22, -v2, v20, v21
	s_delay_alu instid0(VALU_DEP_1) | instskip(NEXT) | instid1(VALU_DEP_1)
	v_fmac_f32_e32 v20, v22, v6
	v_fma_f32 v2, -v2, v20, v21
	s_delay_alu instid0(VALU_DEP_1) | instskip(NEXT) | instid1(VALU_DEP_1)
	v_div_fmas_f32 v2, v2, v6, v20
	v_div_fixup_f32 v2, v2, s8, v3
	s_delay_alu instid0(VALU_DEP_1) | instskip(NEXT) | instid1(VALU_DEP_1)
	v_add_f32_e32 v2, s22, v2
	v_mul_f32_e32 v3, 0x4b800000, v2
	v_cmp_gt_f32_e32 vcc_lo, 0x800000, v2
	s_delay_alu instid0(VALU_DEP_2) | instskip(NEXT) | instid1(VALU_DEP_1)
	v_cndmask_b32_e32 v2, v2, v3, vcc_lo
	v_rsq_f32_e32 v2, v2
	v_nop
	s_delay_alu instid0(TRANS32_DEP_1) | instskip(NEXT) | instid1(VALU_DEP_1)
	v_mul_f32_e32 v3, 0x45800000, v2
	v_dual_cndmask_b32 v2, v2, v3 :: v_dual_mov_b32 v3, 0
	ds_store_b32 v3, v2 offset:264
.LBB9_13:
	s_or_b32 exec_lo, exec_lo, s7
	v_mov_b32_e32 v20, 0
	s_wait_dscnt 0x0
	s_barrier_signal -1
	s_barrier_wait -1
	ds_load_b32 v6, v20 offset:264
                                        ; implicit-def: $sgpr8_sgpr9
	s_and_saveexec_b32 s7, s3
	s_delay_alu instid0(SALU_CYCLE_1)
	s_xor_b32 s3, exec_lo, s7
; %bb.14:
	s_add_nc_u64 s[8:9], s[0:1], 56
; %bb.15:
	s_or_saveexec_b32 s3, s3
	v_mov_b64_e32 v[2:3], s[8:9]
	s_xor_b32 exec_lo, exec_lo, s3
	s_cbranch_execz .LBB9_19
; %bb.16:
	s_load_b32 s7, s[0:1], 0x44
	s_ashr_i32 s11, s23, 31
	s_mov_b32 s10, s23
	v_dual_mov_b32 v20, 0 :: v_dual_mov_b32 v2, v0
	s_mul_u64 s[10:11], s[10:11], s[24:25]
	s_add_nc_u64 s[8:9], s[0:1], 56
	s_lshl_b64 s[10:11], s[10:11], 1
	s_delay_alu instid0(SALU_CYCLE_1)
	s_add_nc_u64 s[10:11], s[16:17], s[10:11]
	s_wait_kmcnt 0x0
	s_and_b32 s27, s7, 0xffff
	s_mov_b32 s7, 0
.LBB9_17:                               ; =>This Inner Loop Header: Depth=1
	s_clause 0x1
	global_load_u16 v3, v2, s[10:11] scale_offset
	global_load_u16 v21, v2, s[18:19] scale_offset
	s_wait_xcnt 0x0
	v_dual_add_nc_u32 v2, s27, v2 :: v_dual_max_num_f32 v20, v20, v20
	s_delay_alu instid0(VALU_DEP_1) | instskip(SKIP_4) | instid1(VALU_DEP_1)
	v_cmp_le_u32_e32 vcc_lo, s23, v2
	s_or_b32 s7, vcc_lo, s7
	s_wait_loadcnt_dscnt 0x100
	v_fma_mixlo_f16 v3, v6, v3, 0 op_sel_hi:[0,1,0]
	s_wait_loadcnt 0x0
	v_mul_f16_e32 v3, v21, v3
	s_delay_alu instid0(VALU_DEP_1) | instskip(NEXT) | instid1(VALU_DEP_1)
	v_cvt_f32_f16_e64 v3, |v3|
	v_max_num_f32_e32 v20, v20, v3
	s_and_not1_b32 exec_lo, exec_lo, s7
	s_cbranch_execnz .LBB9_17
; %bb.18:
	s_or_b32 exec_lo, exec_lo, s7
	v_mov_b64_e32 v[2:3], s[8:9]
.LBB9_19:
	s_or_b32 exec_lo, exec_lo, s3
	global_load_b32 v22, v[2:3], off
	v_mov_b32_e32 v23, 0
	v_or_b32_e32 v21, 0x80, v7
	s_wait_loadcnt 0x0
	v_cmp_lt_u32_e32 vcc_lo, s24, v22
	v_cndmask_b32_e64 v22, 18, 12, vcc_lo
	s_delay_alu instid0(VALU_DEP_1)
	v_add_nc_u64_e32 v[2:3], v[2:3], v[22:23]
	global_load_u16 v2, v[2:3], off
	s_wait_xcnt 0x0
	ds_bpermute_b32 v3, v9, v20
	s_wait_dscnt 0x0
	v_cmp_lt_f32_e32 vcc_lo, v20, v3
	v_cndmask_b32_e32 v3, v20, v3, vcc_lo
	s_wait_loadcnt 0x0
	v_sub_nc_u32_e64 v9, v2, v10 clamp
	s_delay_alu instid0(VALU_DEP_1)
	v_cmp_lt_u32_e32 vcc_lo, v8, v9
	v_cmp_lt_u32_e64 s10, v19, v9
	v_cndmask_b32_e32 v3, v20, v3, vcc_lo
	ds_bpermute_b32 v8, v11, v3
	s_wait_dscnt 0x0
	v_cmp_lt_f32_e64 s3, v3, v8
	s_delay_alu instid0(VALU_DEP_1) | instskip(SKIP_1) | instid1(VALU_DEP_1)
	v_cndmask_b32_e64 v8, v3, v8, s3
	v_cmp_lt_u32_e64 s3, v13, v9
	v_cndmask_b32_e64 v3, v3, v8, s3
	s_or_b32 s3, vcc_lo, s3
	ds_bpermute_b32 v8, v12, v3
	s_wait_dscnt 0x0
	v_cmp_lt_f32_e64 s7, v3, v8
	s_delay_alu instid0(VALU_DEP_1) | instskip(SKIP_1) | instid1(VALU_DEP_1)
	v_cndmask_b32_e64 v8, v3, v8, s7
	v_cmp_lt_u32_e64 s7, v15, v9
	v_cndmask_b32_e64 v3, v3, v8, s7
	s_or_b32 s3, s7, s3
	ds_bpermute_b32 v8, v14, v3
	s_wait_dscnt 0x0
	v_cmp_lt_f32_e64 s8, v3, v8
	s_delay_alu instid0(VALU_DEP_1) | instskip(SKIP_1) | instid1(VALU_DEP_1)
	v_cndmask_b32_e64 v8, v3, v8, s8
	v_cmp_lt_u32_e64 s8, v18, v9
	v_cndmask_b32_e64 v3, v3, v8, s8
	s_or_b32 s3, s8, s3
	;; [unrolled: 8-line block ×3, first 2 shown]
	ds_bpermute_b32 v8, v21, v3
	s_wait_dscnt 0x0
	v_cmp_lt_f32_e32 vcc_lo, v3, v8
	s_and_b32 vcc_lo, s10, vcc_lo
	v_cndmask_b32_e32 v3, v3, v8, vcc_lo
	s_or_b32 vcc_lo, s10, s3
	s_delay_alu instid0(VALU_DEP_1)
	v_cndmask_b32_e32 v3, v20, v3, vcc_lo
	s_and_saveexec_b32 s3, s4
; %bb.20:
	v_lshrrev_b32_e32 v8, 4, v0
	s_delay_alu instid0(VALU_DEP_1)
	v_and_b32_e32 v8, 60, v8
	ds_store_b32 v8, v3 offset:192
; %bb.21:
	s_or_b32 exec_lo, exec_lo, s3
	s_wait_dscnt 0x0
	s_barrier_signal -1
	s_barrier_wait -1
	s_and_saveexec_b32 s7, s5
	s_cbranch_execz .LBB9_23
; %bb.22:
	ds_load_b32 v3, v7 offset:192
	v_cmp_ne_u32_e32 vcc_lo, 15, v4
	v_cmp_gt_u32_e64 s3, 12, v4
	v_dual_add_nc_u32 v2, 63, v2 :: v_dual_add_nc_u32 v8, 1, v4
	v_add_co_ci_u32_e64 v7, null, 0, v1, vcc_lo
	v_cmp_gt_u32_e32 vcc_lo, 14, v4
	s_delay_alu instid0(VALU_DEP_4) | instskip(NEXT) | instid1(VALU_DEP_3)
	v_cndmask_b32_e64 v10, 0, 4, s3
	v_dual_lshrrev_b32 v2, 6, v2 :: v_dual_lshlrev_b32 v7, 2, v7
	v_cndmask_b32_e64 v9, 0, 2, vcc_lo
	s_delay_alu instid0(VALU_DEP_1) | instskip(NEXT) | instid1(VALU_DEP_4)
	v_add_lshl_u32 v9, v9, v1, 2
	v_add_lshl_u32 v1, v10, v1, 2
	s_wait_dscnt 0x0
	ds_bpermute_b32 v7, v7, v3
	s_wait_dscnt 0x0
	v_cmp_lt_f32_e32 vcc_lo, v3, v7
	v_cndmask_b32_e32 v7, v3, v7, vcc_lo
	v_cmp_lt_u32_e32 vcc_lo, v8, v2
	s_delay_alu instid0(VALU_DEP_2) | instskip(SKIP_4) | instid1(VALU_DEP_1)
	v_cndmask_b32_e32 v7, v3, v7, vcc_lo
	ds_bpermute_b32 v8, v9, v7
	v_add_nc_u32_e32 v9, 2, v4
	s_wait_dscnt 0x0
	v_cmp_lt_f32_e64 s3, v7, v8
	v_cndmask_b32_e64 v8, v7, v8, s3
	s_delay_alu instid0(VALU_DEP_3) | instskip(NEXT) | instid1(VALU_DEP_1)
	v_cmp_lt_u32_e64 s3, v9, v2
	v_cndmask_b32_e64 v7, v7, v8, s3
	v_dual_add_nc_u32 v8, 4, v4 :: v_dual_add_nc_u32 v4, 8, v4
	ds_bpermute_b32 v1, v1, v7
	s_wait_dscnt 0x0
	v_cmp_lt_f32_e64 s3, v7, v1
	s_delay_alu instid0(VALU_DEP_1) | instskip(SKIP_1) | instid1(VALU_DEP_1)
	v_cndmask_b32_e64 v1, v7, v1, s3
	v_cmp_lt_u32_e64 s3, v8, v2
	v_cndmask_b32_e64 v1, v7, v1, s3
	v_cmp_lt_u32_e64 s3, v4, v2
	ds_bpermute_b32 v5, v5, v1
	s_wait_dscnt 0x0
	v_cmp_lt_f32_e64 s4, v1, v5
	s_and_b32 s3, s3, s4
	s_delay_alu instid0(SALU_CYCLE_1) | instskip(NEXT) | instid1(VALU_DEP_1)
	v_cndmask_b32_e64 v1, v1, v5, s3
	v_cndmask_b32_e32 v3, v3, v1, vcc_lo
.LBB9_23:
	s_or_b32 exec_lo, exec_lo, s7
	s_and_saveexec_b32 s3, s6
	s_cbranch_execz .LBB9_27
; %bb.24:
	s_cmp_eq_u64 s[20:21], 0
	s_cbranch_scc1 .LBB9_26
; %bb.25:
	s_load_b32 s4, s[20:21], 0x0
	v_max_num_f32_e32 v1, v3, v3
	s_wait_kmcnt 0x0
	v_max_num_f32_e64 v2, s4, s4
	s_delay_alu instid0(VALU_DEP_1)
	v_min_num_f32_e32 v3, v1, v2
.LBB9_26:
	s_delay_alu instid0(VALU_DEP_1)
	v_div_scale_f32 v1, null, 0x43e00000, 0x43e00000, v3
	v_div_scale_f32 v5, vcc_lo, v3, 0x43e00000, v3
	s_lshl_b64 s[4:5], s[24:25], 2
	v_rcp_f32_e32 v2, v1
	s_add_nc_u64 s[4:5], s[14:15], s[4:5]
	v_nop
	s_delay_alu instid0(TRANS32_DEP_1) | instskip(NEXT) | instid1(VALU_DEP_1)
	v_fma_f32 v4, -v1, v2, 1.0
	v_fmac_f32_e32 v2, v4, v2
	s_delay_alu instid0(VALU_DEP_1) | instskip(NEXT) | instid1(VALU_DEP_1)
	v_mul_f32_e32 v4, v5, v2
	v_fma_f32 v7, -v1, v4, v5
	s_delay_alu instid0(VALU_DEP_1) | instskip(NEXT) | instid1(VALU_DEP_1)
	v_fmac_f32_e32 v4, v7, v2
	v_fma_f32 v1, -v1, v4, v5
	s_delay_alu instid0(VALU_DEP_1) | instskip(SKIP_1) | instid1(VALU_DEP_2)
	v_div_fmas_f32 v1, v1, v2, v4
	v_mov_b32_e32 v2, 0
	v_div_fixup_f32 v1, v1, 0x43e00000, v3
	s_delay_alu instid0(VALU_DEP_1)
	v_max_num_f32_e32 v1, 0x36924925, v1
	ds_store_b32 v2, v1 offset:268
	global_store_b32 v2, v1, s[4:5]
.LBB9_27:
	s_wait_xcnt 0x0
	s_or_b32 exec_lo, exec_lo, s3
	s_wait_storecnt_dscnt 0x0
	s_barrier_signal -1
	s_barrier_wait -1
	s_and_saveexec_b32 s4, s2
	s_cbranch_execz .LBB9_36
; %bb.28:
	v_dual_mov_b32 v3, 0 :: v_dual_mov_b32 v2, v0
	s_load_b32 s5, s[0:1], 0x44
	s_ashr_i32 s3, s23, 31
	s_mov_b32 s2, s23
	ds_load_b32 v1, v3 offset:268
	s_mul_u64 s[2:3], s[2:3], s[24:25]
	s_mov_b32 s6, 0
	s_mov_b32 s7, 0x43e00000
	s_wait_kmcnt 0x0
	s_and_b32 s5, s5, 0xffff
	s_branch .LBB9_31
.LBB9_29:                               ;   in Loop: Header=BB9_31 Depth=1
	s_or_b32 exec_lo, exec_lo, s9
.LBB9_30:                               ;   in Loop: Header=BB9_31 Depth=1
	s_delay_alu instid0(SALU_CYCLE_1) | instskip(SKIP_2) | instid1(VALU_DEP_2)
	s_or_b32 exec_lo, exec_lo, s8
	v_dual_add_nc_u32 v2, s5, v2 :: v_dual_lshrrev_b32 v7, 24, v7
	v_add_nc_u64_e32 v[4:5], s[12:13], v[4:5]
	v_cmp_le_u32_e32 vcc_lo, s23, v2
	s_delay_alu instid0(VALU_DEP_3)
	v_and_or_b32 v7, 0x80, v7, v8
	s_or_b32 s6, vcc_lo, s6
	global_store_b8 v[4:5], v7, off
	s_wait_xcnt 0x0
	s_and_not1_b32 exec_lo, exec_lo, s6
	s_cbranch_execz .LBB9_36
.LBB9_31:                               ; =>This Inner Loop Header: Depth=1
	v_add_nc_u64_e32 v[4:5], s[2:3], v[2:3]
	s_mov_b32 s8, exec_lo
	s_delay_alu instid0(VALU_DEP_1)
	v_lshl_add_u64 v[8:9], v[4:5], 1, s[16:17]
	global_load_u16 v7, v[8:9], off
	global_load_u16 v10, v2, s[18:19] scale_offset
	s_wait_loadcnt 0x1
	v_fma_mixlo_f16 v7, v6, v7, 0 op_sel_hi:[0,1,0]
	s_wait_loadcnt 0x0
	s_delay_alu instid0(VALU_DEP_1) | instskip(NEXT) | instid1(VALU_DEP_1)
	v_mul_f16_e32 v7, v10, v7
	v_cvt_f32_f16_e32 v7, v7
	s_wait_dscnt 0x0
	s_wait_xcnt 0x1
	s_delay_alu instid0(VALU_DEP_1) | instskip(SKIP_1) | instid1(VALU_DEP_2)
	v_div_scale_f32 v8, null, v1, v1, v7
	v_div_scale_f32 v11, vcc_lo, v7, v1, v7
	v_rcp_f32_e32 v9, v8
	v_nop
	s_delay_alu instid0(TRANS32_DEP_1) | instskip(NEXT) | instid1(VALU_DEP_1)
	v_fma_f32 v10, -v8, v9, 1.0
	v_fmac_f32_e32 v9, v10, v9
	s_delay_alu instid0(VALU_DEP_1) | instskip(NEXT) | instid1(VALU_DEP_1)
	v_mul_f32_e32 v10, v11, v9
	v_fma_f32 v12, -v8, v10, v11
	s_delay_alu instid0(VALU_DEP_1) | instskip(NEXT) | instid1(VALU_DEP_1)
	v_fmac_f32_e32 v10, v12, v9
	v_fma_f32 v8, -v8, v10, v11
	s_delay_alu instid0(VALU_DEP_1) | instskip(NEXT) | instid1(VALU_DEP_1)
	v_div_fmas_f32 v8, v8, v9, v10
	v_div_fixup_f32 v7, v8, v1, v7
	v_mov_b32_e32 v8, 0x7f
	s_delay_alu instid0(VALU_DEP_2) | instskip(NEXT) | instid1(VALU_DEP_1)
	v_minmax_num_f32 v7, v7, s7, 0xc3e00000
	v_and_b32_e32 v9, 0x7fffffff, v7
	s_wait_xcnt 0x0
	s_delay_alu instid0(VALU_DEP_1)
	v_cmpx_gt_u32_e32 0x43f00000, v9
	s_cbranch_execz .LBB9_30
; %bb.32:                               ;   in Loop: Header=BB9_31 Depth=1
	s_mov_b32 s9, exec_lo
                                        ; implicit-def: $vgpr8
	v_cmpx_lt_u32_e32 0x3c7fffff, v9
	s_xor_b32 s9, exec_lo, s9
; %bb.33:                               ;   in Loop: Header=BB9_31 Depth=1
	v_bfe_u32 v8, v7, 20, 1
	s_delay_alu instid0(VALU_DEP_1) | instskip(NEXT) | instid1(VALU_DEP_1)
	v_add3_u32 v8, v7, v8, 0x407ffff
	v_lshrrev_b32_e32 v8, 20, v8
; %bb.34:                               ;   in Loop: Header=BB9_31 Depth=1
	s_and_not1_saveexec_b32 s9, s9
	s_cbranch_execz .LBB9_29
; %bb.35:                               ;   in Loop: Header=BB9_31 Depth=1
	v_add_f32_e64 v8, 0x46800000, |v7|
	s_branch .LBB9_29
.LBB9_36:
	s_or_b32 exec_lo, exec_lo, s4
	s_branch .LBB9_177
.LBB9_37:
	s_cbranch_execz .LBB9_177
; %bb.38:
	s_load_b32 s3, s[0:1], 0x38
	s_bfe_u32 s2, ttmp6, 0x4000c
	s_and_b32 s4, ttmp6, 15
	s_add_co_i32 s2, s2, 1
	s_mov_b32 s27, 0
	s_mul_i32 s2, ttmp9, s2
	v_mov_b32_e32 v2, 0
	s_add_co_i32 s4, s4, s2
	s_cmp_eq_u32 s26, 0
	s_wait_xcnt 0x0
	s_add_nc_u64 s[0:1], s[0:1], 56
	s_cselect_b32 s26, ttmp9, s4
	s_ashr_i32 s5, s23, 31
	s_mov_b32 s4, s23
	s_ashr_i32 s28, s23, 2
	s_mul_u64 s[24:25], s[4:5], s[26:27]
	v_cmp_gt_u32_e64 s2, s28, v0
	s_lshl_b64 s[4:5], s[24:25], 1
	s_delay_alu instid0(SALU_CYCLE_1)
	s_add_nc_u64 s[10:11], s[16:17], s[4:5]
	s_and_saveexec_b32 s4, s2
	s_cbranch_execz .LBB9_48
; %bb.39:
	s_wait_kmcnt 0x0
	s_cmp_lt_u32 s26, s3
	s_mov_b32 s7, s27
	s_cselect_b32 s6, 12, 18
	v_dual_mov_b32 v2, 0 :: v_dual_mov_b32 v1, v0
	s_add_nc_u64 s[6:7], s[0:1], s[6:7]
	s_mov_b32 s8, s27
	s_load_u16 s5, s[6:7], 0x0
                                        ; implicit-def: $sgpr16
	s_wait_kmcnt 0x0
	s_lshl_b32 s6, s5, 1
	s_mul_i32 s7, s5, 3
	s_add_co_i32 s9, s5, s5
	s_branch .LBB9_43
.LBB9_40:                               ;   in Loop: Header=BB9_43 Depth=1
	s_or_b32 exec_lo, exec_lo, s30
	s_delay_alu instid0(SALU_CYCLE_1)
	s_or_not1_b32 s30, s31, exec_lo
.LBB9_41:                               ;   in Loop: Header=BB9_43 Depth=1
	s_or_b32 exec_lo, exec_lo, s29
	s_delay_alu instid0(SALU_CYCLE_1) | instskip(SKIP_1) | instid1(SALU_CYCLE_1)
	s_and_not1_b32 s16, s16, exec_lo
	s_and_b32 s29, s30, exec_lo
	s_or_b32 s16, s16, s29
.LBB9_42:                               ;   in Loop: Header=BB9_43 Depth=1
	s_or_b32 exec_lo, exec_lo, s17
	s_delay_alu instid0(SALU_CYCLE_1) | instskip(NEXT) | instid1(SALU_CYCLE_1)
	s_and_b32 s17, exec_lo, s16
	s_or_b32 s8, s17, s8
	s_delay_alu instid0(SALU_CYCLE_1)
	s_and_not1_b32 exec_lo, exec_lo, s8
	s_cbranch_execz .LBB9_47
.LBB9_43:                               ; =>This Inner Loop Header: Depth=1
	global_load_b64 v[4:5], v1, s[10:11] scale_offset
	s_or_b32 s16, s16, exec_lo
	s_mov_b32 s17, exec_lo
	s_wait_loadcnt 0x0
	v_lshrrev_b32_e32 v3, 16, v4
	v_cvt_f32_f16_e32 v6, v4
	v_cvt_f32_f16_e32 v4, v5
	s_delay_alu instid0(VALU_DEP_3) | instskip(NEXT) | instid1(VALU_DEP_1)
	v_cvt_f32_f16_e32 v7, v3
	v_pk_mul_f32 v[6:7], v[6:7], v[6:7]
	s_delay_alu instid0(VALU_DEP_1) | instskip(NEXT) | instid1(VALU_DEP_1)
	v_dual_add_f32 v2, v2, v6 :: v_dual_lshrrev_b32 v3, 16, v5
	v_add_f32_e32 v2, v2, v7
	s_delay_alu instid0(VALU_DEP_2) | instskip(SKIP_1) | instid1(VALU_DEP_2)
	v_cvt_f32_f16_e32 v5, v3
	v_add_nc_u32_e32 v3, s5, v1
	v_pk_mul_f32 v[4:5], v[4:5], v[4:5]
	s_delay_alu instid0(VALU_DEP_1) | instskip(NEXT) | instid1(VALU_DEP_1)
	v_add_f32_e32 v2, v2, v4
	v_add_f32_e32 v2, v2, v5
	s_wait_xcnt 0x0
	v_cmpx_gt_u32_e64 s28, v3
	s_cbranch_execz .LBB9_42
; %bb.44:                               ;   in Loop: Header=BB9_43 Depth=1
	global_load_b64 v[4:5], v3, s[10:11] scale_offset
	s_mov_b32 s30, -1
	s_mov_b32 s29, exec_lo
	s_wait_loadcnt 0x0
	v_dual_lshrrev_b32 v7, 16, v4 :: v_dual_lshrrev_b32 v8, 16, v5
	v_cvt_f32_f16_e32 v6, v4
	v_cvt_f32_f16_e32 v4, v5
	s_delay_alu instid0(VALU_DEP_3) | instskip(NEXT) | instid1(VALU_DEP_4)
	v_cvt_f32_f16_e32 v7, v7
	v_cvt_f32_f16_e32 v5, v8
	s_delay_alu instid0(VALU_DEP_2) | instskip(NEXT) | instid1(VALU_DEP_2)
	v_pk_mul_f32 v[6:7], v[6:7], v[6:7]
	v_pk_mul_f32 v[4:5], v[4:5], v[4:5]
	s_delay_alu instid0(VALU_DEP_2) | instskip(NEXT) | instid1(VALU_DEP_1)
	v_add_f32_e32 v2, v2, v6
	v_add_f32_e32 v2, v2, v7
	s_delay_alu instid0(VALU_DEP_1) | instskip(NEXT) | instid1(VALU_DEP_1)
	v_dual_add_f32 v2, v2, v4 :: v_dual_add_nc_u32 v4, s6, v1
	v_add_f32_e32 v2, v2, v5
	s_wait_xcnt 0x0
	s_delay_alu instid0(VALU_DEP_2)
	v_cmpx_gt_u32_e64 s28, v4
	s_cbranch_execz .LBB9_41
; %bb.45:                               ;   in Loop: Header=BB9_43 Depth=1
	global_load_b64 v[4:5], v4, s[10:11] scale_offset
	s_mov_b32 s31, -1
	s_mov_b32 s30, exec_lo
	s_wait_loadcnt 0x0
	v_dual_lshrrev_b32 v7, 16, v4 :: v_dual_lshrrev_b32 v8, 16, v5
	v_cvt_f32_f16_e32 v6, v4
	s_wait_xcnt 0x0
	v_cvt_f32_f16_e32 v4, v5
	s_delay_alu instid0(VALU_DEP_3) | instskip(SKIP_1) | instid1(VALU_DEP_2)
	v_cvt_f32_f16_e32 v7, v7
	v_cvt_f32_f16_e32 v5, v8
	v_pk_mul_f32 v[6:7], v[6:7], v[6:7]
	s_delay_alu instid0(VALU_DEP_2) | instskip(NEXT) | instid1(VALU_DEP_2)
	v_pk_mul_f32 v[4:5], v[4:5], v[4:5]
	v_add_f32_e32 v2, v2, v6
	s_delay_alu instid0(VALU_DEP_1) | instskip(NEXT) | instid1(VALU_DEP_1)
	v_add_f32_e32 v2, v2, v7
	v_dual_add_f32 v2, v2, v4 :: v_dual_add_nc_u32 v4, s7, v1
                                        ; implicit-def: $vgpr1
	s_delay_alu instid0(VALU_DEP_1) | instskip(NEXT) | instid1(VALU_DEP_2)
	v_add_f32_e32 v2, v2, v5
	v_cmpx_gt_u32_e64 s28, v4
	s_xor_b32 s30, exec_lo, s30
	s_cbranch_execz .LBB9_40
; %bb.46:                               ;   in Loop: Header=BB9_43 Depth=1
	global_load_b64 v[4:5], v4, s[10:11] scale_offset
	s_wait_loadcnt 0x0
	v_lshrrev_b32_e32 v1, 16, v4
	v_cvt_f32_f16_e32 v6, v4
	s_wait_xcnt 0x0
	v_cvt_f32_f16_e32 v4, v5
	s_delay_alu instid0(VALU_DEP_3) | instskip(NEXT) | instid1(VALU_DEP_1)
	v_cvt_f32_f16_e32 v7, v1
	v_pk_mul_f32 v[6:7], v[6:7], v[6:7]
	s_delay_alu instid0(VALU_DEP_1) | instskip(NEXT) | instid1(VALU_DEP_1)
	v_dual_add_f32 v2, v2, v6 :: v_dual_lshrrev_b32 v1, 16, v5
	v_add_f32_e32 v2, v2, v7
	s_delay_alu instid0(VALU_DEP_2) | instskip(SKIP_1) | instid1(VALU_DEP_2)
	v_cvt_f32_f16_e32 v5, v1
	v_add3_u32 v1, s9, s5, v3
	v_pk_mul_f32 v[4:5], v[4:5], v[4:5]
	s_delay_alu instid0(VALU_DEP_2) | instskip(NEXT) | instid1(VALU_DEP_2)
	v_cmp_le_u32_e32 vcc_lo, s28, v1
	v_add_f32_e32 v2, v2, v4
	s_or_not1_b32 s31, vcc_lo, exec_lo
	s_delay_alu instid0(VALU_DEP_1)
	v_add_f32_e32 v2, v2, v5
	s_branch .LBB9_40
.LBB9_47:
	s_or_b32 exec_lo, exec_lo, s8
.LBB9_48:
	s_delay_alu instid0(SALU_CYCLE_1)
	s_or_b32 exec_lo, exec_lo, s4
	v_mbcnt_lo_u32_b32 v1, -1, 0
	s_wait_kmcnt 0x0
	s_cmp_lt_u32 s26, s3
	s_mov_b32 s5, 0
	s_cselect_b32 s4, 12, 18
	v_and_b32_e32 v5, 0x3c0, v0
	v_cmp_ne_u32_e32 vcc_lo, 63, v1
	s_add_nc_u64 s[0:1], s[0:1], s[4:5]
	v_cmp_eq_u32_e64 s6, 0, v1
	s_load_u16 s16, s[0:1], 0x0
	v_add_nc_u32_e32 v6, 1, v1
	v_add_co_ci_u32_e64 v3, null, 0, v1, vcc_lo
	v_cmp_gt_u32_e32 vcc_lo, 62, v1
	s_delay_alu instid0(VALU_DEP_2)
	v_lshlrev_b32_e32 v3, 2, v3
	v_cndmask_b32_e64 v7, 0, 2, vcc_lo
	v_cmp_gt_u32_e32 vcc_lo, 60, v1
	ds_bpermute_b32 v4, v3, v2
	s_wait_kmcnt 0x0
	v_sub_nc_u32_e64 v8, s16, v5 clamp
	s_delay_alu instid0(VALU_DEP_1)
	v_cmp_lt_u32_e64 s0, v6, v8
	v_cndmask_b32_e64 v6, 0, 4, vcc_lo
	v_cmp_gt_u32_e32 vcc_lo, 56, v1
	s_wait_dscnt 0x0
	v_add_f32_e32 v5, v2, v4
	v_add_lshl_u32 v4, v7, v1, 2
	v_add_nc_u32_e32 v7, 2, v1
	s_delay_alu instid0(VALU_DEP_3) | instskip(NEXT) | instid1(VALU_DEP_2)
	v_cndmask_b32_e64 v2, v2, v5, s0
	v_cmp_lt_u32_e64 s1, v7, v8
	v_cndmask_b32_e64 v7, 0, 8, vcc_lo
	v_cmp_gt_u32_e32 vcc_lo, 48, v1
	ds_bpermute_b32 v5, v4, v2
	s_wait_dscnt 0x0
	v_add_f32_e32 v9, v2, v5
	v_add_lshl_u32 v5, v6, v1, 2
	s_delay_alu instid0(VALU_DEP_2) | instskip(SKIP_4) | instid1(VALU_DEP_2)
	v_cndmask_b32_e64 v2, v2, v9, s1
	ds_bpermute_b32 v6, v5, v2
	s_wait_dscnt 0x0
	v_dual_add_f32 v10, v2, v6 :: v_dual_add_nc_u32 v9, 4, v1
	v_add_lshl_u32 v6, v7, v1, 2
	v_cmp_lt_u32_e64 s3, v9, v8
	v_cndmask_b32_e64 v9, 0, 16, vcc_lo
	s_delay_alu instid0(VALU_DEP_2) | instskip(SKIP_3) | instid1(VALU_DEP_1)
	v_cndmask_b32_e64 v2, v2, v10, s3
	ds_bpermute_b32 v7, v6, v2
	s_wait_dscnt 0x0
	v_dual_add_f32 v11, v2, v7 :: v_dual_add_nc_u32 v10, 8, v1
	v_cmp_lt_u32_e64 s4, v10, v8
	v_add_lshl_u32 v7, v9, v1, 2
	s_delay_alu instid0(VALU_DEP_2) | instskip(NEXT) | instid1(VALU_DEP_1)
	v_dual_add_nc_u32 v10, 16, v1 :: v_dual_cndmask_b32 v9, v2, v11, s4
	v_cmp_lt_u32_e64 s5, v10, v8
	ds_bpermute_b32 v2, v7, v9
	s_wait_dscnt 0x0
	v_dual_add_f32 v11, v9, v2 :: v_dual_lshlrev_b32 v2, 2, v1
	s_delay_alu instid0(VALU_DEP_1) | instskip(SKIP_3) | instid1(VALU_DEP_1)
	v_cndmask_b32_e64 v9, v9, v11, s5
	ds_bpermute_b32 v10, v2, v9 offset:128
	s_wait_dscnt 0x0
	v_dual_add_f32 v10, v9, v10 :: v_dual_bitop2_b32 v11, 32, v1 bitop3:0x54
	v_cmp_lt_u32_e64 s8, v11, v8
	s_delay_alu instid0(VALU_DEP_1)
	v_cndmask_b32_e64 v8, v9, v10, s8
	s_and_saveexec_b32 s7, s6
; %bb.49:
	v_lshrrev_b32_e32 v9, 4, v0
	s_delay_alu instid0(VALU_DEP_1)
	v_and_b32_e32 v9, 60, v9
	ds_store_b32 v9, v8
; %bb.50:
	s_or_b32 exec_lo, exec_lo, s7
	v_cmp_gt_u32_e64 s7, 16, v0
	s_wait_storecnt_dscnt 0x0
	s_barrier_signal -1
	s_barrier_wait -1
	s_and_saveexec_b32 s17, s7
	s_cbranch_execz .LBB9_52
; %bb.51:
	ds_load_b32 v8, v2
	v_and_b32_e32 v9, 15, v1
	s_add_co_i32 s9, s16, 63
	s_delay_alu instid0(SALU_CYCLE_1) | instskip(NEXT) | instid1(VALU_DEP_1)
	s_lshr_b32 s29, s9, 6
	v_cmp_ne_u32_e32 vcc_lo, 15, v9
	v_add_co_ci_u32_e64 v10, null, 0, v1, vcc_lo
	s_delay_alu instid0(VALU_DEP_1)
	v_lshlrev_b32_e32 v10, 2, v10
	v_cmp_gt_u32_e32 vcc_lo, 14, v9
	v_cmp_gt_u32_e64 s9, 12, v9
	v_add_nc_u32_e32 v13, 2, v9
	s_wait_dscnt 0x0
	ds_bpermute_b32 v10, v10, v8
	v_add_nc_u32_e32 v12, 1, v9
	v_cndmask_b32_e64 v11, 0, 2, vcc_lo
	s_delay_alu instid0(VALU_DEP_1)
	v_add_lshl_u32 v11, v11, v1, 2
	s_wait_dscnt 0x0
	v_add_f32_e32 v10, v8, v10
	v_cmp_gt_u32_e32 vcc_lo, s29, v12
	v_cndmask_b32_e64 v12, 0, 4, s9
	v_cmp_gt_u32_e64 s9, s29, v13
	s_delay_alu instid0(VALU_DEP_4) | instskip(NEXT) | instid1(VALU_DEP_3)
	v_cndmask_b32_e32 v10, v8, v10, vcc_lo
	v_add_lshl_u32 v12, v12, v1, 2
	ds_bpermute_b32 v11, v11, v10
	s_wait_dscnt 0x0
	v_add_f32_e32 v11, v10, v11
	s_delay_alu instid0(VALU_DEP_1) | instskip(SKIP_2) | instid1(VALU_DEP_1)
	v_cndmask_b32_e64 v10, v10, v11, s9
	ds_bpermute_b32 v11, v12, v10
	v_dual_add_nc_u32 v12, 4, v9 :: v_dual_add_nc_u32 v9, 8, v9
	v_cmp_gt_u32_e64 s9, s29, v12
	s_wait_dscnt 0x0
	v_add_f32_e32 v11, v10, v11
	s_delay_alu instid0(VALU_DEP_1) | instskip(SKIP_4) | instid1(VALU_DEP_1)
	v_dual_cndmask_b32 v10, v10, v11, s9 :: v_dual_bitop2_b32 v11, 32, v2 bitop3:0x54
	v_cmp_gt_u32_e64 s9, s29, v9
	ds_bpermute_b32 v11, v11, v10
	s_wait_dscnt 0x0
	v_add_f32_e32 v11, v10, v11
	v_cndmask_b32_e64 v9, v10, v11, s9
	s_delay_alu instid0(VALU_DEP_1)
	v_cndmask_b32_e32 v8, v8, v9, vcc_lo
.LBB9_52:
	s_or_b32 exec_lo, exec_lo, s17
	v_cmp_eq_u32_e64 s9, 0, v0
	s_and_saveexec_b32 s17, s9
	s_cbranch_execz .LBB9_54
; %bb.53:
	s_cvt_f32_i32 s23, s23
	s_delay_alu instid0(SALU_CYCLE_3) | instskip(SKIP_1) | instid1(VALU_DEP_2)
	v_div_scale_f32 v9, null, s23, s23, v8
	v_div_scale_f32 v12, vcc_lo, v8, s23, v8
	v_rcp_f32_e32 v10, v9
	v_nop
	s_delay_alu instid0(TRANS32_DEP_1) | instskip(NEXT) | instid1(VALU_DEP_1)
	v_fma_f32 v11, -v9, v10, 1.0
	v_fmac_f32_e32 v10, v11, v10
	s_delay_alu instid0(VALU_DEP_1) | instskip(NEXT) | instid1(VALU_DEP_1)
	v_mul_f32_e32 v11, v12, v10
	v_fma_f32 v13, -v9, v11, v12
	s_delay_alu instid0(VALU_DEP_1) | instskip(NEXT) | instid1(VALU_DEP_1)
	v_fmac_f32_e32 v11, v13, v10
	v_fma_f32 v9, -v9, v11, v12
	s_delay_alu instid0(VALU_DEP_1) | instskip(NEXT) | instid1(VALU_DEP_1)
	v_div_fmas_f32 v9, v9, v10, v11
	v_div_fixup_f32 v8, v9, s23, v8
	s_delay_alu instid0(VALU_DEP_1) | instskip(NEXT) | instid1(VALU_DEP_1)
	v_add_f32_e32 v8, s22, v8
	v_mul_f32_e32 v9, 0x4b800000, v8
	v_cmp_gt_f32_e32 vcc_lo, 0x800000, v8
	s_delay_alu instid0(VALU_DEP_2) | instskip(NEXT) | instid1(VALU_DEP_1)
	v_cndmask_b32_e32 v8, v8, v9, vcc_lo
	v_rsq_f32_e32 v8, v8
	v_nop
	s_delay_alu instid0(TRANS32_DEP_1) | instskip(NEXT) | instid1(VALU_DEP_1)
	v_mul_f32_e32 v9, 0x45800000, v8
	v_dual_cndmask_b32 v8, v8, v9 :: v_dual_mov_b32 v9, 0
	ds_store_b32 v9, v8 offset:256
.LBB9_54:
	s_or_b32 exec_lo, exec_lo, s17
	v_mov_b32_e32 v8, 0
	s_wait_dscnt 0x0
	s_barrier_signal -1
	s_barrier_wait -1
	ds_load_b32 v10, v8 offset:256
	s_and_saveexec_b32 s17, s2
	s_cbranch_execz .LBB9_64
; %bb.55:
	v_dual_mov_b32 v8, 0 :: v_dual_mov_b32 v9, v0
	s_lshl_b32 s22, s16, 1
	s_mul_i32 s29, s16, 3
	s_mov_b32 s23, 0
	s_add_co_i32 s30, s16, s16
                                        ; implicit-def: $sgpr31
	s_branch .LBB9_59
.LBB9_56:                               ;   in Loop: Header=BB9_59 Depth=1
	s_or_b32 exec_lo, exec_lo, s35
	s_delay_alu instid0(SALU_CYCLE_1)
	s_or_not1_b32 s35, s36, exec_lo
.LBB9_57:                               ;   in Loop: Header=BB9_59 Depth=1
	s_or_b32 exec_lo, exec_lo, s34
	s_delay_alu instid0(SALU_CYCLE_1) | instskip(SKIP_1) | instid1(SALU_CYCLE_1)
	s_and_not1_b32 s31, s31, exec_lo
	s_and_b32 s34, s35, exec_lo
	s_or_b32 s31, s31, s34
.LBB9_58:                               ;   in Loop: Header=BB9_59 Depth=1
	s_or_b32 exec_lo, exec_lo, s33
	s_delay_alu instid0(SALU_CYCLE_1) | instskip(NEXT) | instid1(SALU_CYCLE_1)
	s_and_b32 s33, exec_lo, s31
	s_or_b32 s23, s33, s23
	s_delay_alu instid0(SALU_CYCLE_1)
	s_and_not1_b32 exec_lo, exec_lo, s23
	s_cbranch_execz .LBB9_63
.LBB9_59:                               ; =>This Inner Loop Header: Depth=1
	s_clause 0x1
	global_load_b64 v[12:13], v9, s[18:19] scale_offset
	global_load_b64 v[14:15], v9, s[10:11] scale_offset
	s_or_b32 s31, s31, exec_lo
	s_mov_b32 s33, exec_lo
	s_wait_loadcnt 0x1
	v_dual_lshrrev_b32 v11, 16, v12 :: v_dual_lshrrev_b32 v17, 16, v13
	s_wait_loadcnt_dscnt 0x0
	v_fma_mixlo_f16 v16, v10, v14, 0 op_sel_hi:[0,1,0]
	v_fma_mixlo_f16 v14, v10, v14, 0 op_sel:[0,1,0] op_sel_hi:[0,1,0]
	v_fma_mixlo_f16 v18, v10, v15, 0 op_sel_hi:[0,1,0]
	v_fma_mixlo_f16 v15, v10, v15, 0 op_sel:[0,1,0] op_sel_hi:[0,1,0]
	s_delay_alu instid0(VALU_DEP_4) | instskip(NEXT) | instid1(VALU_DEP_4)
	v_mul_f16_e32 v12, v12, v16
	v_mul_f16_e32 v11, v11, v14
	s_delay_alu instid0(VALU_DEP_4) | instskip(NEXT) | instid1(VALU_DEP_4)
	v_mul_f16_e32 v13, v13, v18
	v_mul_f16_e32 v14, v17, v15
	s_delay_alu instid0(VALU_DEP_4) | instskip(NEXT) | instid1(VALU_DEP_4)
	v_cvt_f32_f16_e64 v12, |v12|
	v_cvt_f32_f16_e64 v11, |v11|
	s_delay_alu instid0(VALU_DEP_4) | instskip(NEXT) | instid1(VALU_DEP_4)
	v_cvt_f32_f16_e64 v13, |v13|
	v_cvt_f32_f16_e64 v14, |v14|
	s_delay_alu instid0(VALU_DEP_3) | instskip(SKIP_1) | instid1(VALU_DEP_2)
	v_max3_num_f32 v8, v8, v12, v11
	v_add_nc_u32_e32 v11, s16, v9
	v_max3_num_f32 v8, v8, v13, v14
	s_delay_alu instid0(VALU_DEP_2)
	v_cmpx_gt_u32_e64 s28, v11
	s_cbranch_execz .LBB9_58
; %bb.60:                               ;   in Loop: Header=BB9_59 Depth=1
	s_clause 0x1
	global_load_b64 v[12:13], v11, s[18:19] scale_offset
	global_load_b64 v[14:15], v11, s[10:11] scale_offset
	s_mov_b32 s35, -1
	s_mov_b32 s34, exec_lo
	s_wait_loadcnt 0x1
	v_dual_lshrrev_b32 v16, 16, v12 :: v_dual_lshrrev_b32 v18, 16, v13
	s_wait_loadcnt 0x0
	v_fma_mixlo_f16 v17, v10, v14, 0 op_sel_hi:[0,1,0]
	v_fma_mixlo_f16 v14, v10, v14, 0 op_sel:[0,1,0] op_sel_hi:[0,1,0]
	v_fma_mixlo_f16 v19, v10, v15, 0 op_sel_hi:[0,1,0]
	v_fma_mixlo_f16 v15, v10, v15, 0 op_sel:[0,1,0] op_sel_hi:[0,1,0]
	s_delay_alu instid0(VALU_DEP_4) | instskip(NEXT) | instid1(VALU_DEP_4)
	v_mul_f16_e32 v12, v12, v17
	v_mul_f16_e32 v14, v16, v14
	s_delay_alu instid0(VALU_DEP_4) | instskip(NEXT) | instid1(VALU_DEP_4)
	v_mul_f16_e32 v13, v13, v19
	v_mul_f16_e32 v15, v18, v15
	s_delay_alu instid0(VALU_DEP_4) | instskip(NEXT) | instid1(VALU_DEP_4)
	v_cvt_f32_f16_e64 v12, |v12|
	v_cvt_f32_f16_e64 v14, |v14|
	s_delay_alu instid0(VALU_DEP_4) | instskip(NEXT) | instid1(VALU_DEP_4)
	v_cvt_f32_f16_e64 v13, |v13|
	v_cvt_f32_f16_e64 v15, |v15|
	s_delay_alu instid0(VALU_DEP_3) | instskip(SKIP_1) | instid1(VALU_DEP_2)
	v_max3_num_f32 v8, v8, v12, v14
	v_add_nc_u32_e32 v12, s22, v9
	v_max3_num_f32 v8, v8, v13, v15
	s_delay_alu instid0(VALU_DEP_2)
	v_cmpx_gt_u32_e64 s28, v12
	s_cbranch_execz .LBB9_57
; %bb.61:                               ;   in Loop: Header=BB9_59 Depth=1
	s_clause 0x1
	global_load_b64 v[14:15], v12, s[18:19] scale_offset
	global_load_b64 v[16:17], v12, s[10:11] scale_offset
	s_mov_b32 s36, -1
	s_mov_b32 s35, exec_lo
	s_wait_loadcnt 0x1
	s_wait_xcnt 0x0
	v_dual_lshrrev_b32 v12, 16, v14 :: v_dual_lshrrev_b32 v18, 16, v15
	s_wait_loadcnt 0x0
	v_fma_mixlo_f16 v13, v10, v16, 0 op_sel_hi:[0,1,0]
	v_fma_mixlo_f16 v16, v10, v16, 0 op_sel:[0,1,0] op_sel_hi:[0,1,0]
	v_fma_mixlo_f16 v19, v10, v17, 0 op_sel_hi:[0,1,0]
	v_fma_mixlo_f16 v17, v10, v17, 0 op_sel:[0,1,0] op_sel_hi:[0,1,0]
	s_delay_alu instid0(VALU_DEP_4) | instskip(NEXT) | instid1(VALU_DEP_4)
	v_mul_f16_e32 v13, v14, v13
	v_mul_f16_e32 v12, v12, v16
	s_delay_alu instid0(VALU_DEP_4) | instskip(NEXT) | instid1(VALU_DEP_4)
	v_mul_f16_e32 v14, v15, v19
	v_mul_f16_e32 v15, v18, v17
	s_delay_alu instid0(VALU_DEP_4) | instskip(NEXT) | instid1(VALU_DEP_4)
	v_cvt_f32_f16_e64 v13, |v13|
	v_cvt_f32_f16_e64 v12, |v12|
	s_delay_alu instid0(VALU_DEP_4) | instskip(NEXT) | instid1(VALU_DEP_4)
	v_cvt_f32_f16_e64 v14, |v14|
	v_cvt_f32_f16_e64 v15, |v15|
	s_delay_alu instid0(VALU_DEP_3) | instskip(SKIP_1) | instid1(VALU_DEP_2)
	v_max3_num_f32 v8, v8, v13, v12
	v_add_nc_u32_e32 v12, s29, v9
                                        ; implicit-def: $vgpr9
	v_max3_num_f32 v8, v8, v14, v15
	s_delay_alu instid0(VALU_DEP_2)
	v_cmpx_gt_u32_e64 s28, v12
	s_xor_b32 s35, exec_lo, s35
	s_cbranch_execz .LBB9_56
; %bb.62:                               ;   in Loop: Header=BB9_59 Depth=1
	s_clause 0x1
	global_load_b64 v[14:15], v12, s[18:19] scale_offset
	global_load_b64 v[16:17], v12, s[10:11] scale_offset
	s_wait_loadcnt 0x1
	v_lshrrev_b32_e32 v9, 16, v14
	s_wait_loadcnt 0x0
	v_fma_mixlo_f16 v12, v10, v16, 0 op_sel_hi:[0,1,0]
	v_fma_mixlo_f16 v13, v10, v16, 0 op_sel:[0,1,0] op_sel_hi:[0,1,0]
	v_lshrrev_b32_e32 v16, 16, v15
	v_fma_mixlo_f16 v18, v10, v17, 0 op_sel_hi:[0,1,0]
	s_delay_alu instid0(VALU_DEP_4) | instskip(NEXT) | instid1(VALU_DEP_4)
	v_mul_f16_e32 v12, v14, v12
	v_mul_f16_e32 v9, v9, v13
	v_fma_mixlo_f16 v13, v10, v17, 0 op_sel:[0,1,0] op_sel_hi:[0,1,0]
	s_delay_alu instid0(VALU_DEP_4) | instskip(NEXT) | instid1(VALU_DEP_4)
	v_mul_f16_e32 v14, v15, v18
	v_cvt_f32_f16_e64 v12, |v12|
	s_delay_alu instid0(VALU_DEP_4) | instskip(NEXT) | instid1(VALU_DEP_4)
	v_cvt_f32_f16_e64 v15, |v9|
	v_mul_f16_e32 v13, v16, v13
	v_add3_u32 v9, s30, s16, v11
	v_cvt_f32_f16_e64 v11, |v14|
	s_delay_alu instid0(VALU_DEP_4) | instskip(NEXT) | instid1(VALU_DEP_4)
	v_max3_num_f32 v8, v8, v12, v15
	v_cvt_f32_f16_e64 v12, |v13|
	s_delay_alu instid0(VALU_DEP_4) | instskip(NEXT) | instid1(VALU_DEP_2)
	v_cmp_le_u32_e32 vcc_lo, s28, v9
	v_max3_num_f32 v8, v8, v11, v12
	s_or_not1_b32 s36, vcc_lo, exec_lo
	s_branch .LBB9_56
.LBB9_63:
	s_or_b32 exec_lo, exec_lo, s23
.LBB9_64:
	s_delay_alu instid0(SALU_CYCLE_1)
	s_or_b32 exec_lo, exec_lo, s17
	ds_bpermute_b32 v3, v3, v8
	v_or_b32_e32 v9, 0x80, v2
	s_wait_dscnt 0x0
	v_cmp_lt_f32_e32 vcc_lo, v8, v3
	v_cndmask_b32_e32 v3, v8, v3, vcc_lo
	s_delay_alu instid0(VALU_DEP_1) | instskip(SKIP_1) | instid1(SALU_CYCLE_1)
	v_cndmask_b32_e64 v3, v8, v3, s0
	s_or_b32 s0, s0, s1
	s_or_b32 s0, s3, s0
	s_delay_alu instid0(SALU_CYCLE_1)
	s_or_b32 s0, s4, s0
	ds_bpermute_b32 v4, v4, v3
	s_or_b32 s0, s5, s0
	s_wait_dscnt 0x0
	v_cmp_lt_f32_e32 vcc_lo, v3, v4
	v_cndmask_b32_e32 v4, v3, v4, vcc_lo
	s_delay_alu instid0(VALU_DEP_1) | instskip(SKIP_4) | instid1(VALU_DEP_1)
	v_cndmask_b32_e64 v3, v3, v4, s1
	ds_bpermute_b32 v4, v5, v3
	s_wait_dscnt 0x0
	v_cmp_lt_f32_e32 vcc_lo, v3, v4
	v_cndmask_b32_e32 v4, v3, v4, vcc_lo
	v_cndmask_b32_e64 v3, v3, v4, s3
	ds_bpermute_b32 v4, v6, v3
	s_wait_dscnt 0x0
	v_cmp_lt_f32_e32 vcc_lo, v3, v4
	v_cndmask_b32_e32 v4, v3, v4, vcc_lo
	s_delay_alu instid0(VALU_DEP_1) | instskip(SKIP_4) | instid1(VALU_DEP_1)
	v_cndmask_b32_e64 v3, v3, v4, s4
	ds_bpermute_b32 v4, v7, v3
	s_wait_dscnt 0x0
	v_cmp_lt_f32_e32 vcc_lo, v3, v4
	v_cndmask_b32_e32 v4, v3, v4, vcc_lo
	v_cndmask_b32_e64 v3, v3, v4, s5
	ds_bpermute_b32 v4, v9, v3
	s_wait_dscnt 0x0
	v_cmp_lt_f32_e32 vcc_lo, v3, v4
	s_and_b32 vcc_lo, s8, vcc_lo
	v_cndmask_b32_e32 v3, v3, v4, vcc_lo
	s_or_b32 vcc_lo, s8, s0
	s_delay_alu instid0(VALU_DEP_1)
	v_cndmask_b32_e32 v3, v8, v3, vcc_lo
	s_and_saveexec_b32 s0, s6
; %bb.65:
	v_lshrrev_b32_e32 v4, 4, v0
	s_delay_alu instid0(VALU_DEP_1)
	v_and_b32_e32 v4, 60, v4
	ds_store_b32 v4, v3 offset:64
; %bb.66:
	s_or_b32 exec_lo, exec_lo, s0
	s_wait_dscnt 0x0
	s_barrier_signal -1
	s_barrier_wait -1
	s_and_saveexec_b32 s3, s7
	s_cbranch_execz .LBB9_68
; %bb.67:
	ds_load_b32 v3, v2 offset:64
	v_and_b32_e32 v4, 15, v1
	s_add_co_i32 s0, s16, 63
	v_or_b32_e32 v2, 32, v2
	s_lshr_b32 s1, s0, 6
	s_delay_alu instid0(VALU_DEP_2) | instskip(SKIP_4) | instid1(VALU_DEP_3)
	v_cmp_ne_u32_e32 vcc_lo, 15, v4
	v_add_nc_u32_e32 v6, 1, v4
	v_cmp_gt_u32_e64 s0, 12, v4
	v_add_co_ci_u32_e64 v5, null, 0, v1, vcc_lo
	v_cmp_gt_u32_e32 vcc_lo, 14, v4
	v_cndmask_b32_e64 v8, 0, 4, s0
	s_delay_alu instid0(VALU_DEP_3)
	v_lshlrev_b32_e32 v5, 2, v5
	v_cndmask_b32_e64 v7, 0, 2, vcc_lo
	s_wait_dscnt 0x0
	ds_bpermute_b32 v5, v5, v3
	v_add_lshl_u32 v7, v7, v1, 2
	v_add_lshl_u32 v1, v8, v1, 2
	s_wait_dscnt 0x0
	v_cmp_lt_f32_e32 vcc_lo, v3, v5
	v_cndmask_b32_e32 v5, v3, v5, vcc_lo
	v_cmp_gt_u32_e32 vcc_lo, s1, v6
	s_delay_alu instid0(VALU_DEP_2) | instskip(SKIP_3) | instid1(VALU_DEP_1)
	v_cndmask_b32_e32 v5, v3, v5, vcc_lo
	ds_bpermute_b32 v6, v7, v5
	s_wait_dscnt 0x0
	v_cmp_lt_f32_e64 s0, v5, v6
	v_dual_cndmask_b32 v6, v5, v6, s0 :: v_dual_add_nc_u32 v7, 2, v4
	s_delay_alu instid0(VALU_DEP_1) | instskip(NEXT) | instid1(VALU_DEP_1)
	v_cmp_gt_u32_e64 s0, s1, v7
	v_dual_cndmask_b32 v5, v5, v6, s0 :: v_dual_add_nc_u32 v6, 4, v4
	v_add_nc_u32_e32 v4, 8, v4
	ds_bpermute_b32 v1, v1, v5
	s_wait_dscnt 0x0
	v_cmp_lt_f32_e64 s0, v5, v1
	s_delay_alu instid0(VALU_DEP_1) | instskip(SKIP_1) | instid1(VALU_DEP_1)
	v_cndmask_b32_e64 v1, v5, v1, s0
	v_cmp_gt_u32_e64 s0, s1, v6
	v_cndmask_b32_e64 v1, v5, v1, s0
	v_cmp_gt_u32_e64 s0, s1, v4
	ds_bpermute_b32 v2, v2, v1
	s_wait_dscnt 0x0
	v_cmp_lt_f32_e64 s1, v1, v2
	s_and_b32 s0, s0, s1
	s_delay_alu instid0(SALU_CYCLE_1) | instskip(NEXT) | instid1(VALU_DEP_1)
	v_cndmask_b32_e64 v1, v1, v2, s0
	v_cndmask_b32_e32 v3, v3, v1, vcc_lo
.LBB9_68:
	s_or_b32 exec_lo, exec_lo, s3
	s_and_saveexec_b32 s0, s9
	s_cbranch_execz .LBB9_72
; %bb.69:
	s_cmp_eq_u64 s[20:21], 0
	s_cbranch_scc1 .LBB9_71
; %bb.70:
	v_dual_mov_b32 v1, 0 :: v_dual_max_num_f32 v2, v3, v3
	global_load_b32 v1, v1, s[20:21]
	s_wait_loadcnt 0x0
	v_max_num_f32_e32 v1, v1, v1
	s_delay_alu instid0(VALU_DEP_1)
	v_min_num_f32_e32 v3, v2, v1
.LBB9_71:
	s_delay_alu instid0(VALU_DEP_1)
	v_div_scale_f32 v1, null, 0x43e00000, 0x43e00000, v3
	v_div_scale_f32 v5, vcc_lo, v3, 0x43e00000, v3
	s_lshl_b64 s[4:5], s[26:27], 2
	v_rcp_f32_e32 v2, v1
	s_add_nc_u64 s[4:5], s[14:15], s[4:5]
	v_nop
	s_delay_alu instid0(TRANS32_DEP_1) | instskip(NEXT) | instid1(VALU_DEP_1)
	v_fma_f32 v4, -v1, v2, 1.0
	v_fmac_f32_e32 v2, v4, v2
	s_delay_alu instid0(VALU_DEP_1) | instskip(NEXT) | instid1(VALU_DEP_1)
	v_mul_f32_e32 v4, v5, v2
	v_fma_f32 v6, -v1, v4, v5
	s_delay_alu instid0(VALU_DEP_1) | instskip(NEXT) | instid1(VALU_DEP_1)
	v_fmac_f32_e32 v4, v6, v2
	v_fma_f32 v1, -v1, v4, v5
	s_delay_alu instid0(VALU_DEP_1) | instskip(SKIP_1) | instid1(VALU_DEP_2)
	v_div_fmas_f32 v1, v1, v2, v4
	v_mov_b32_e32 v2, 0
	v_div_fixup_f32 v1, v1, 0x43e00000, v3
	s_delay_alu instid0(VALU_DEP_1)
	v_max_num_f32_e32 v1, 0x36924925, v1
	ds_store_b32 v2, v1 offset:260
	global_store_b32 v2, v1, s[4:5]
.LBB9_72:
	s_wait_xcnt 0x0
	s_or_b32 exec_lo, exec_lo, s0
	s_wait_storecnt_dscnt 0x0
	s_barrier_signal -1
	s_barrier_wait -1
	s_and_saveexec_b32 s0, s2
	s_cbranch_execz .LBB9_177
; %bb.73:
	v_mov_b32_e32 v1, 0
	s_add_nc_u64 s[0:1], s[12:13], s[24:25]
	s_lshl_b32 s2, s16, 1
	s_mul_i32 s3, s16, 3
	s_mov_b32 s4, 0
	ds_load_b32 v11, v1 offset:260
	s_mov_b32 s5, 0x43e00000
	s_add_co_i32 s6, s16, s16
	s_branch .LBB9_79
.LBB9_74:                               ;   in Loop: Header=BB9_79 Depth=1
	s_or_b32 exec_lo, exec_lo, s13
.LBB9_75:                               ;   in Loop: Header=BB9_79 Depth=1
	s_delay_alu instid0(SALU_CYCLE_1) | instskip(SKIP_3) | instid1(VALU_DEP_3)
	s_or_b32 exec_lo, exec_lo, s12
	v_dual_lshrrev_b32 v7, 24, v12 :: v_dual_lshrrev_b32 v3, 24, v3
	v_dual_lshrrev_b32 v4, 24, v4 :: v_dual_lshlrev_b32 v6, 24, v6
	v_and_b32_e32 v12, 0x80000000, v5
	v_and_b32_e32 v7, 0x80, v7
	;; [unrolled: 1-line block ×3, first 2 shown]
	s_delay_alu instid0(VALU_DEP_4) | instskip(NEXT) | instid1(VALU_DEP_3)
	v_and_b32_e32 v4, 0x80, v4
	v_and_or_b32 v7, 0xff, v13, v7
	s_delay_alu instid0(VALU_DEP_3) | instskip(NEXT) | instid1(VALU_DEP_3)
	v_and_or_b32 v3, 0x80, v3, v8
	v_and_or_b32 v9, 0xff, v9, v4
	v_lshl_add_u64 v[4:5], v[0:1], 2, s[0:1]
	v_add3_u32 v0, s6, s16, v2
	s_delay_alu instid0(VALU_DEP_3) | instskip(NEXT) | instid1(VALU_DEP_2)
	v_dual_lshlrev_b32 v7, 16, v7 :: v_dual_lshlrev_b32 v2, 8, v9
	v_cmp_le_u32_e32 vcc_lo, s28, v0
	s_delay_alu instid0(VALU_DEP_2) | instskip(SKIP_1) | instid1(VALU_DEP_1)
	v_or3_b32 v6, v12, v6, v7
	s_or_not1_b32 s12, vcc_lo, exec_lo
	v_or3_b32 v2, v6, v2, v3
	global_store_b32 v[4:5], v2, off
.LBB9_76:                               ;   in Loop: Header=BB9_79 Depth=1
	s_wait_xcnt 0x0
	s_or_b32 exec_lo, exec_lo, s9
	s_delay_alu instid0(SALU_CYCLE_1)
	s_or_not1_b32 s9, s12, exec_lo
.LBB9_77:                               ;   in Loop: Header=BB9_79 Depth=1
	s_or_b32 exec_lo, exec_lo, s8
	s_delay_alu instid0(SALU_CYCLE_1)
	s_or_not1_b32 s8, s9, exec_lo
.LBB9_78:                               ;   in Loop: Header=BB9_79 Depth=1
	s_or_b32 exec_lo, exec_lo, s7
	s_delay_alu instid0(SALU_CYCLE_1) | instskip(NEXT) | instid1(SALU_CYCLE_1)
	s_and_b32 s7, exec_lo, s8
	s_or_b32 s4, s7, s4
	s_delay_alu instid0(SALU_CYCLE_1)
	s_and_not1_b32 exec_lo, exec_lo, s4
	s_cbranch_execz .LBB9_177
.LBB9_79:                               ; =>This Inner Loop Header: Depth=1
	s_clause 0x1
	global_load_b64 v[2:3], v0, s[10:11] scale_offset
	global_load_b64 v[4:5], v0, s[18:19] scale_offset
	s_mov_b32 s7, exec_lo
	s_wait_loadcnt 0x1
	v_fma_mixlo_f16 v6, v10, v2, 0 op_sel_hi:[0,1,0]
	s_wait_loadcnt 0x0
	s_delay_alu instid0(VALU_DEP_1) | instskip(NEXT) | instid1(VALU_DEP_1)
	v_mul_f16_e32 v6, v4, v6
	v_cvt_f32_f16_e32 v6, v6
	s_wait_dscnt 0x0
	s_delay_alu instid0(VALU_DEP_1) | instskip(SKIP_1) | instid1(VALU_DEP_2)
	v_div_scale_f32 v7, null, v11, v11, v6
	v_div_scale_f32 v12, vcc_lo, v6, v11, v6
	v_rcp_f32_e32 v8, v7
	v_nop
	s_delay_alu instid0(TRANS32_DEP_1) | instskip(NEXT) | instid1(VALU_DEP_1)
	v_fma_f32 v9, -v7, v8, 1.0
	v_fmac_f32_e32 v8, v9, v8
	s_delay_alu instid0(VALU_DEP_1) | instskip(NEXT) | instid1(VALU_DEP_1)
	v_mul_f32_e32 v9, v12, v8
	v_fma_f32 v13, -v7, v9, v12
	s_delay_alu instid0(VALU_DEP_1) | instskip(NEXT) | instid1(VALU_DEP_1)
	v_fmac_f32_e32 v9, v13, v8
	v_fma_f32 v7, -v7, v9, v12
	s_delay_alu instid0(VALU_DEP_1) | instskip(SKIP_1) | instid1(VALU_DEP_2)
	v_div_fmas_f32 v7, v7, v8, v9
	v_mov_b32_e32 v8, 0x7f
	v_div_fixup_f32 v6, v7, v11, v6
	v_mov_b32_e32 v7, 0x7f
	s_delay_alu instid0(VALU_DEP_2) | instskip(NEXT) | instid1(VALU_DEP_1)
	v_minmax_num_f32 v6, v6, s5, 0xc3e00000
	v_and_b32_e32 v9, 0x7fffffff, v6
	s_wait_xcnt 0x0
	s_delay_alu instid0(VALU_DEP_1)
	v_cmpx_gt_u32_e32 0x43f00000, v9
	s_cbranch_execz .LBB9_85
; %bb.80:                               ;   in Loop: Header=BB9_79 Depth=1
	s_mov_b32 s8, exec_lo
                                        ; implicit-def: $vgpr7
	v_cmpx_lt_u32_e32 0x3c7fffff, v9
	s_xor_b32 s8, exec_lo, s8
; %bb.81:                               ;   in Loop: Header=BB9_79 Depth=1
	v_bfe_u32 v7, v6, 20, 1
	s_delay_alu instid0(VALU_DEP_1) | instskip(NEXT) | instid1(VALU_DEP_1)
	v_add3_u32 v7, v6, v7, 0x407ffff
	v_lshrrev_b32_e32 v7, 20, v7
; %bb.82:                               ;   in Loop: Header=BB9_79 Depth=1
	s_and_not1_saveexec_b32 s8, s8
; %bb.83:                               ;   in Loop: Header=BB9_79 Depth=1
	v_add_f32_e64 v7, 0x46800000, |v6|
; %bb.84:                               ;   in Loop: Header=BB9_79 Depth=1
	s_or_b32 exec_lo, exec_lo, s8
.LBB9_85:                               ;   in Loop: Header=BB9_79 Depth=1
	s_delay_alu instid0(SALU_CYCLE_1) | instskip(SKIP_3) | instid1(VALU_DEP_1)
	s_or_b32 exec_lo, exec_lo, s7
	v_lshrrev_b32_e32 v4, 16, v4
	v_fma_mixlo_f16 v2, v10, v2, 0 op_sel:[0,1,0] op_sel_hi:[0,1,0]
	s_mov_b32 s7, exec_lo
	v_mul_f16_e32 v2, v4, v2
	s_delay_alu instid0(VALU_DEP_1) | instskip(NEXT) | instid1(VALU_DEP_1)
	v_cvt_f32_f16_e32 v2, v2
	v_div_scale_f32 v4, null, v11, v11, v2
	s_delay_alu instid0(VALU_DEP_1) | instskip(SKIP_1) | instid1(TRANS32_DEP_1)
	v_rcp_f32_e32 v9, v4
	v_nop
	v_fma_f32 v12, -v4, v9, 1.0
	s_delay_alu instid0(VALU_DEP_1) | instskip(SKIP_1) | instid1(VALU_DEP_1)
	v_fmac_f32_e32 v9, v12, v9
	v_div_scale_f32 v12, vcc_lo, v2, v11, v2
	v_mul_f32_e32 v13, v12, v9
	s_delay_alu instid0(VALU_DEP_1) | instskip(NEXT) | instid1(VALU_DEP_1)
	v_fma_f32 v14, -v4, v13, v12
	v_fmac_f32_e32 v13, v14, v9
	s_delay_alu instid0(VALU_DEP_1) | instskip(NEXT) | instid1(VALU_DEP_1)
	v_fma_f32 v4, -v4, v13, v12
	v_div_fmas_f32 v4, v4, v9, v13
	s_delay_alu instid0(VALU_DEP_1) | instskip(NEXT) | instid1(VALU_DEP_1)
	v_div_fixup_f32 v2, v4, v11, v2
	v_minmax_num_f32 v2, v2, s5, 0xc3e00000
	s_delay_alu instid0(VALU_DEP_1) | instskip(NEXT) | instid1(VALU_DEP_1)
	v_and_b32_e32 v4, 0x7fffffff, v2
	v_cmpx_gt_u32_e32 0x43f00000, v4
	s_cbranch_execz .LBB9_91
; %bb.86:                               ;   in Loop: Header=BB9_79 Depth=1
	s_mov_b32 s8, exec_lo
                                        ; implicit-def: $vgpr8
	v_cmpx_lt_u32_e32 0x3c7fffff, v4
	s_xor_b32 s8, exec_lo, s8
; %bb.87:                               ;   in Loop: Header=BB9_79 Depth=1
	v_bfe_u32 v4, v2, 20, 1
	s_delay_alu instid0(VALU_DEP_1) | instskip(NEXT) | instid1(VALU_DEP_1)
	v_add3_u32 v4, v2, v4, 0x407ffff
	v_lshrrev_b32_e32 v8, 20, v4
; %bb.88:                               ;   in Loop: Header=BB9_79 Depth=1
	s_and_not1_saveexec_b32 s8, s8
; %bb.89:                               ;   in Loop: Header=BB9_79 Depth=1
	v_add_f32_e64 v8, 0x46800000, |v2|
; %bb.90:                               ;   in Loop: Header=BB9_79 Depth=1
	s_or_b32 exec_lo, exec_lo, s8
.LBB9_91:                               ;   in Loop: Header=BB9_79 Depth=1
	s_delay_alu instid0(SALU_CYCLE_1) | instskip(SKIP_2) | instid1(VALU_DEP_1)
	s_or_b32 exec_lo, exec_lo, s7
	v_fma_mixlo_f16 v4, v10, v3, 0 op_sel_hi:[0,1,0]
	s_mov_b32 s7, exec_lo
	v_mul_f16_e32 v4, v5, v4
	s_delay_alu instid0(VALU_DEP_1) | instskip(NEXT) | instid1(VALU_DEP_1)
	v_cvt_f32_f16_e32 v4, v4
	v_div_scale_f32 v9, null, v11, v11, v4
	v_div_scale_f32 v14, vcc_lo, v4, v11, v4
	s_delay_alu instid0(VALU_DEP_2) | instskip(SKIP_1) | instid1(TRANS32_DEP_1)
	v_rcp_f32_e32 v12, v9
	v_nop
	v_fma_f32 v13, -v9, v12, 1.0
	s_delay_alu instid0(VALU_DEP_1) | instskip(NEXT) | instid1(VALU_DEP_1)
	v_fmac_f32_e32 v12, v13, v12
	v_mul_f32_e32 v13, v14, v12
	s_delay_alu instid0(VALU_DEP_1) | instskip(NEXT) | instid1(VALU_DEP_1)
	v_fma_f32 v15, -v9, v13, v14
	v_fmac_f32_e32 v13, v15, v12
	s_delay_alu instid0(VALU_DEP_1) | instskip(NEXT) | instid1(VALU_DEP_1)
	v_fma_f32 v9, -v9, v13, v14
	v_div_fmas_f32 v9, v9, v12, v13
	v_mov_b32_e32 v12, 0x7f
	s_delay_alu instid0(VALU_DEP_2) | instskip(NEXT) | instid1(VALU_DEP_1)
	v_div_fixup_f32 v4, v9, v11, v4
	v_minmax_num_f32 v9, v4, s5, 0xc3e00000
	v_mov_b32_e32 v4, 0x7f
	s_delay_alu instid0(VALU_DEP_2) | instskip(NEXT) | instid1(VALU_DEP_1)
	v_and_b32_e32 v13, 0x7fffffff, v9
	v_cmpx_gt_u32_e32 0x43f00000, v13
	s_cbranch_execz .LBB9_97
; %bb.92:                               ;   in Loop: Header=BB9_79 Depth=1
	s_mov_b32 s8, exec_lo
                                        ; implicit-def: $vgpr12
	v_cmpx_lt_u32_e32 0x3c7fffff, v13
	s_xor_b32 s8, exec_lo, s8
; %bb.93:                               ;   in Loop: Header=BB9_79 Depth=1
	v_bfe_u32 v12, v9, 20, 1
	s_delay_alu instid0(VALU_DEP_1) | instskip(NEXT) | instid1(VALU_DEP_1)
	v_add3_u32 v12, v9, v12, 0x407ffff
	v_lshrrev_b32_e32 v12, 20, v12
; %bb.94:                               ;   in Loop: Header=BB9_79 Depth=1
	s_and_not1_saveexec_b32 s8, s8
; %bb.95:                               ;   in Loop: Header=BB9_79 Depth=1
	v_add_f32_e64 v12, 0x46800000, |v9|
; %bb.96:                               ;   in Loop: Header=BB9_79 Depth=1
	s_or_b32 exec_lo, exec_lo, s8
.LBB9_97:                               ;   in Loop: Header=BB9_79 Depth=1
	s_delay_alu instid0(SALU_CYCLE_1) | instskip(SKIP_3) | instid1(VALU_DEP_1)
	s_or_b32 exec_lo, exec_lo, s7
	v_lshrrev_b32_e32 v5, 16, v5
	v_fma_mixlo_f16 v3, v10, v3, 0 op_sel:[0,1,0] op_sel_hi:[0,1,0]
	s_mov_b32 s7, exec_lo
	v_mul_f16_e32 v3, v5, v3
	s_delay_alu instid0(VALU_DEP_1) | instskip(NEXT) | instid1(VALU_DEP_1)
	v_cvt_f32_f16_e32 v3, v3
	v_div_scale_f32 v5, null, v11, v11, v3
	s_delay_alu instid0(VALU_DEP_1) | instskip(SKIP_1) | instid1(TRANS32_DEP_1)
	v_rcp_f32_e32 v13, v5
	v_nop
	v_fma_f32 v14, -v5, v13, 1.0
	s_delay_alu instid0(VALU_DEP_1) | instskip(SKIP_1) | instid1(VALU_DEP_1)
	v_fmac_f32_e32 v13, v14, v13
	v_div_scale_f32 v14, vcc_lo, v3, v11, v3
	v_mul_f32_e32 v15, v14, v13
	s_delay_alu instid0(VALU_DEP_1) | instskip(NEXT) | instid1(VALU_DEP_1)
	v_fma_f32 v16, -v5, v15, v14
	v_fmac_f32_e32 v15, v16, v13
	s_delay_alu instid0(VALU_DEP_1) | instskip(NEXT) | instid1(VALU_DEP_1)
	v_fma_f32 v5, -v5, v15, v14
	v_div_fmas_f32 v5, v5, v13, v15
	s_delay_alu instid0(VALU_DEP_1) | instskip(NEXT) | instid1(VALU_DEP_1)
	v_div_fixup_f32 v3, v5, v11, v3
	v_minmax_num_f32 v3, v3, s5, 0xc3e00000
	s_delay_alu instid0(VALU_DEP_1) | instskip(NEXT) | instid1(VALU_DEP_1)
	v_and_b32_e32 v5, 0x7fffffff, v3
	v_cmpx_gt_u32_e32 0x43f00000, v5
	s_cbranch_execz .LBB9_103
; %bb.98:                               ;   in Loop: Header=BB9_79 Depth=1
	s_mov_b32 s8, exec_lo
                                        ; implicit-def: $vgpr4
	v_cmpx_lt_u32_e32 0x3c7fffff, v5
	s_xor_b32 s8, exec_lo, s8
; %bb.99:                               ;   in Loop: Header=BB9_79 Depth=1
	v_bfe_u32 v4, v3, 20, 1
	s_delay_alu instid0(VALU_DEP_1) | instskip(NEXT) | instid1(VALU_DEP_1)
	v_add3_u32 v4, v3, v4, 0x407ffff
	v_lshrrev_b32_e32 v4, 20, v4
; %bb.100:                              ;   in Loop: Header=BB9_79 Depth=1
	s_and_not1_saveexec_b32 s8, s8
; %bb.101:                              ;   in Loop: Header=BB9_79 Depth=1
	v_add_f32_e64 v4, 0x46800000, |v3|
; %bb.102:                              ;   in Loop: Header=BB9_79 Depth=1
	s_or_b32 exec_lo, exec_lo, s8
.LBB9_103:                              ;   in Loop: Header=BB9_79 Depth=1
	s_delay_alu instid0(SALU_CYCLE_1) | instskip(SKIP_1) | instid1(VALU_DEP_2)
	s_or_b32 exec_lo, exec_lo, s7
	v_dual_lshrrev_b32 v5, 24, v9 :: v_dual_lshrrev_b32 v2, 24, v2
	v_dual_lshrrev_b32 v6, 24, v6 :: v_dual_lshlrev_b32 v4, 24, v4
	v_and_b32_e32 v3, 0x80000000, v3
	s_delay_alu instid0(VALU_DEP_3) | instskip(NEXT) | instid1(VALU_DEP_4)
	v_and_b32_e32 v5, 0x80, v5
	v_and_b32_e32 v2, 0x80, v2
	;; [unrolled: 1-line block ×3, first 2 shown]
	s_mov_b32 s8, -1
	s_mov_b32 s7, exec_lo
	v_and_or_b32 v5, 0xff, v12, v5
	v_and_or_b32 v2, 0xff, v8, v2
	;; [unrolled: 1-line block ×3, first 2 shown]
	s_delay_alu instid0(VALU_DEP_2) | instskip(SKIP_1) | instid1(VALU_DEP_2)
	v_dual_lshlrev_b32 v5, 16, v5 :: v_dual_lshlrev_b32 v8, 8, v2
	v_add_nc_u32_e32 v2, s16, v0
	v_or3_b32 v3, v3, v4, v5
	v_lshl_add_u64 v[4:5], v[0:1], 2, s[0:1]
	s_delay_alu instid0(VALU_DEP_2)
	v_or3_b32 v3, v3, v8, v6
	global_store_b32 v[4:5], v3, off
	s_wait_xcnt 0x0
	v_cmpx_gt_u32_e64 s28, v2
	s_cbranch_execz .LBB9_78
; %bb.104:                              ;   in Loop: Header=BB9_79 Depth=1
	s_clause 0x1
	global_load_b64 v[4:5], v2, s[10:11] scale_offset
	global_load_b64 v[6:7], v2, s[18:19] scale_offset
	s_mov_b32 s8, exec_lo
	s_wait_loadcnt 0x1
	v_fma_mixlo_f16 v3, v10, v4, 0 op_sel_hi:[0,1,0]
	s_wait_loadcnt 0x0
	s_delay_alu instid0(VALU_DEP_1) | instskip(NEXT) | instid1(VALU_DEP_1)
	v_mul_f16_e32 v3, v6, v3
	v_cvt_f32_f16_e32 v3, v3
	s_delay_alu instid0(VALU_DEP_1) | instskip(SKIP_1) | instid1(VALU_DEP_2)
	v_div_scale_f32 v8, null, v11, v11, v3
	v_div_scale_f32 v13, vcc_lo, v3, v11, v3
	v_rcp_f32_e32 v9, v8
	v_nop
	s_delay_alu instid0(TRANS32_DEP_1) | instskip(NEXT) | instid1(VALU_DEP_1)
	v_fma_f32 v12, -v8, v9, 1.0
	v_fmac_f32_e32 v9, v12, v9
	s_delay_alu instid0(VALU_DEP_1) | instskip(NEXT) | instid1(VALU_DEP_1)
	v_mul_f32_e32 v12, v13, v9
	v_fma_f32 v14, -v8, v12, v13
	s_delay_alu instid0(VALU_DEP_1) | instskip(NEXT) | instid1(VALU_DEP_1)
	v_fmac_f32_e32 v12, v14, v9
	v_fma_f32 v8, -v8, v12, v13
	s_delay_alu instid0(VALU_DEP_1) | instskip(SKIP_1) | instid1(VALU_DEP_2)
	v_div_fmas_f32 v8, v8, v9, v12
	v_mov_b32_e32 v9, 0x7f
	v_div_fixup_f32 v3, v8, v11, v3
	v_mov_b32_e32 v8, 0x7f
	s_delay_alu instid0(VALU_DEP_2) | instskip(NEXT) | instid1(VALU_DEP_1)
	v_minmax_num_f32 v3, v3, s5, 0xc3e00000
	v_and_b32_e32 v12, 0x7fffffff, v3
	s_wait_xcnt 0x0
	s_delay_alu instid0(VALU_DEP_1)
	v_cmpx_gt_u32_e32 0x43f00000, v12
	s_cbranch_execz .LBB9_110
; %bb.105:                              ;   in Loop: Header=BB9_79 Depth=1
	s_mov_b32 s9, exec_lo
                                        ; implicit-def: $vgpr8
	v_cmpx_lt_u32_e32 0x3c7fffff, v12
	s_xor_b32 s9, exec_lo, s9
; %bb.106:                              ;   in Loop: Header=BB9_79 Depth=1
	v_bfe_u32 v8, v3, 20, 1
	s_delay_alu instid0(VALU_DEP_1) | instskip(NEXT) | instid1(VALU_DEP_1)
	v_add3_u32 v8, v3, v8, 0x407ffff
	v_lshrrev_b32_e32 v8, 20, v8
; %bb.107:                              ;   in Loop: Header=BB9_79 Depth=1
	s_and_not1_saveexec_b32 s9, s9
; %bb.108:                              ;   in Loop: Header=BB9_79 Depth=1
	v_add_f32_e64 v8, 0x46800000, |v3|
; %bb.109:                              ;   in Loop: Header=BB9_79 Depth=1
	s_or_b32 exec_lo, exec_lo, s9
.LBB9_110:                              ;   in Loop: Header=BB9_79 Depth=1
	s_delay_alu instid0(SALU_CYCLE_1) | instskip(SKIP_3) | instid1(VALU_DEP_1)
	s_or_b32 exec_lo, exec_lo, s8
	v_lshrrev_b32_e32 v6, 16, v6
	v_fma_mixlo_f16 v4, v10, v4, 0 op_sel:[0,1,0] op_sel_hi:[0,1,0]
	s_mov_b32 s8, exec_lo
	v_mul_f16_e32 v4, v6, v4
	s_delay_alu instid0(VALU_DEP_1) | instskip(NEXT) | instid1(VALU_DEP_1)
	v_cvt_f32_f16_e32 v4, v4
	v_div_scale_f32 v6, null, v11, v11, v4
	s_delay_alu instid0(VALU_DEP_1) | instskip(SKIP_1) | instid1(TRANS32_DEP_1)
	v_rcp_f32_e32 v12, v6
	v_nop
	v_fma_f32 v13, -v6, v12, 1.0
	s_delay_alu instid0(VALU_DEP_1) | instskip(SKIP_1) | instid1(VALU_DEP_1)
	v_fmac_f32_e32 v12, v13, v12
	v_div_scale_f32 v13, vcc_lo, v4, v11, v4
	v_mul_f32_e32 v14, v13, v12
	s_delay_alu instid0(VALU_DEP_1) | instskip(NEXT) | instid1(VALU_DEP_1)
	v_fma_f32 v15, -v6, v14, v13
	v_fmac_f32_e32 v14, v15, v12
	s_delay_alu instid0(VALU_DEP_1) | instskip(NEXT) | instid1(VALU_DEP_1)
	v_fma_f32 v6, -v6, v14, v13
	v_div_fmas_f32 v6, v6, v12, v14
	s_delay_alu instid0(VALU_DEP_1) | instskip(NEXT) | instid1(VALU_DEP_1)
	v_div_fixup_f32 v4, v6, v11, v4
	v_minmax_num_f32 v4, v4, s5, 0xc3e00000
	s_delay_alu instid0(VALU_DEP_1) | instskip(NEXT) | instid1(VALU_DEP_1)
	v_and_b32_e32 v6, 0x7fffffff, v4
	v_cmpx_gt_u32_e32 0x43f00000, v6
	s_cbranch_execz .LBB9_116
; %bb.111:                              ;   in Loop: Header=BB9_79 Depth=1
	s_mov_b32 s9, exec_lo
                                        ; implicit-def: $vgpr9
	v_cmpx_lt_u32_e32 0x3c7fffff, v6
	s_xor_b32 s9, exec_lo, s9
; %bb.112:                              ;   in Loop: Header=BB9_79 Depth=1
	v_bfe_u32 v6, v4, 20, 1
	s_delay_alu instid0(VALU_DEP_1) | instskip(NEXT) | instid1(VALU_DEP_1)
	v_add3_u32 v6, v4, v6, 0x407ffff
	v_lshrrev_b32_e32 v9, 20, v6
; %bb.113:                              ;   in Loop: Header=BB9_79 Depth=1
	s_and_not1_saveexec_b32 s9, s9
; %bb.114:                              ;   in Loop: Header=BB9_79 Depth=1
	v_add_f32_e64 v9, 0x46800000, |v4|
; %bb.115:                              ;   in Loop: Header=BB9_79 Depth=1
	s_or_b32 exec_lo, exec_lo, s9
.LBB9_116:                              ;   in Loop: Header=BB9_79 Depth=1
	s_delay_alu instid0(SALU_CYCLE_1) | instskip(SKIP_2) | instid1(VALU_DEP_1)
	s_or_b32 exec_lo, exec_lo, s8
	v_fma_mixlo_f16 v6, v10, v5, 0 op_sel_hi:[0,1,0]
	s_mov_b32 s8, exec_lo
	v_mul_f16_e32 v6, v7, v6
	s_delay_alu instid0(VALU_DEP_1) | instskip(NEXT) | instid1(VALU_DEP_1)
	v_cvt_f32_f16_e32 v6, v6
	v_div_scale_f32 v12, null, v11, v11, v6
	v_div_scale_f32 v15, vcc_lo, v6, v11, v6
	s_delay_alu instid0(VALU_DEP_2) | instskip(SKIP_1) | instid1(TRANS32_DEP_1)
	v_rcp_f32_e32 v13, v12
	v_nop
	v_fma_f32 v14, -v12, v13, 1.0
	s_delay_alu instid0(VALU_DEP_1) | instskip(NEXT) | instid1(VALU_DEP_1)
	v_fmac_f32_e32 v13, v14, v13
	v_mul_f32_e32 v14, v15, v13
	s_delay_alu instid0(VALU_DEP_1) | instskip(NEXT) | instid1(VALU_DEP_1)
	v_fma_f32 v16, -v12, v14, v15
	v_fmac_f32_e32 v14, v16, v13
	s_delay_alu instid0(VALU_DEP_1) | instskip(NEXT) | instid1(VALU_DEP_1)
	v_fma_f32 v12, -v12, v14, v15
	v_div_fmas_f32 v12, v12, v13, v14
	v_mov_b32_e32 v13, 0x7f
	s_delay_alu instid0(VALU_DEP_2) | instskip(NEXT) | instid1(VALU_DEP_1)
	v_div_fixup_f32 v6, v12, v11, v6
	v_minmax_num_f32 v12, v6, s5, 0xc3e00000
	v_mov_b32_e32 v6, 0x7f
	s_delay_alu instid0(VALU_DEP_2) | instskip(NEXT) | instid1(VALU_DEP_1)
	v_and_b32_e32 v14, 0x7fffffff, v12
	v_cmpx_gt_u32_e32 0x43f00000, v14
	s_cbranch_execz .LBB9_122
; %bb.117:                              ;   in Loop: Header=BB9_79 Depth=1
	s_mov_b32 s9, exec_lo
                                        ; implicit-def: $vgpr13
	v_cmpx_lt_u32_e32 0x3c7fffff, v14
	s_xor_b32 s9, exec_lo, s9
; %bb.118:                              ;   in Loop: Header=BB9_79 Depth=1
	v_bfe_u32 v13, v12, 20, 1
	s_delay_alu instid0(VALU_DEP_1) | instskip(NEXT) | instid1(VALU_DEP_1)
	v_add3_u32 v13, v12, v13, 0x407ffff
	v_lshrrev_b32_e32 v13, 20, v13
; %bb.119:                              ;   in Loop: Header=BB9_79 Depth=1
	s_and_not1_saveexec_b32 s9, s9
; %bb.120:                              ;   in Loop: Header=BB9_79 Depth=1
	v_add_f32_e64 v13, 0x46800000, |v12|
; %bb.121:                              ;   in Loop: Header=BB9_79 Depth=1
	s_or_b32 exec_lo, exec_lo, s9
.LBB9_122:                              ;   in Loop: Header=BB9_79 Depth=1
	s_delay_alu instid0(SALU_CYCLE_1) | instskip(SKIP_3) | instid1(VALU_DEP_1)
	s_or_b32 exec_lo, exec_lo, s8
	v_lshrrev_b32_e32 v7, 16, v7
	v_fma_mixlo_f16 v5, v10, v5, 0 op_sel:[0,1,0] op_sel_hi:[0,1,0]
	s_mov_b32 s8, exec_lo
	v_mul_f16_e32 v5, v7, v5
	s_delay_alu instid0(VALU_DEP_1) | instskip(NEXT) | instid1(VALU_DEP_1)
	v_cvt_f32_f16_e32 v5, v5
	v_div_scale_f32 v7, null, v11, v11, v5
	s_delay_alu instid0(VALU_DEP_1) | instskip(SKIP_1) | instid1(TRANS32_DEP_1)
	v_rcp_f32_e32 v14, v7
	v_nop
	v_fma_f32 v15, -v7, v14, 1.0
	s_delay_alu instid0(VALU_DEP_1) | instskip(SKIP_1) | instid1(VALU_DEP_1)
	v_fmac_f32_e32 v14, v15, v14
	v_div_scale_f32 v15, vcc_lo, v5, v11, v5
	v_mul_f32_e32 v16, v15, v14
	s_delay_alu instid0(VALU_DEP_1) | instskip(NEXT) | instid1(VALU_DEP_1)
	v_fma_f32 v17, -v7, v16, v15
	v_fmac_f32_e32 v16, v17, v14
	s_delay_alu instid0(VALU_DEP_1) | instskip(NEXT) | instid1(VALU_DEP_1)
	v_fma_f32 v7, -v7, v16, v15
	v_div_fmas_f32 v7, v7, v14, v16
	s_delay_alu instid0(VALU_DEP_1) | instskip(NEXT) | instid1(VALU_DEP_1)
	v_div_fixup_f32 v5, v7, v11, v5
	v_minmax_num_f32 v5, v5, s5, 0xc3e00000
	s_delay_alu instid0(VALU_DEP_1) | instskip(NEXT) | instid1(VALU_DEP_1)
	v_and_b32_e32 v7, 0x7fffffff, v5
	v_cmpx_gt_u32_e32 0x43f00000, v7
	s_cbranch_execz .LBB9_128
; %bb.123:                              ;   in Loop: Header=BB9_79 Depth=1
	s_mov_b32 s9, exec_lo
                                        ; implicit-def: $vgpr6
	v_cmpx_lt_u32_e32 0x3c7fffff, v7
	s_xor_b32 s9, exec_lo, s9
; %bb.124:                              ;   in Loop: Header=BB9_79 Depth=1
	v_bfe_u32 v6, v5, 20, 1
	s_delay_alu instid0(VALU_DEP_1) | instskip(NEXT) | instid1(VALU_DEP_1)
	v_add3_u32 v6, v5, v6, 0x407ffff
	v_lshrrev_b32_e32 v6, 20, v6
; %bb.125:                              ;   in Loop: Header=BB9_79 Depth=1
	s_and_not1_saveexec_b32 s9, s9
; %bb.126:                              ;   in Loop: Header=BB9_79 Depth=1
	v_add_f32_e64 v6, 0x46800000, |v5|
; %bb.127:                              ;   in Loop: Header=BB9_79 Depth=1
	s_or_b32 exec_lo, exec_lo, s9
.LBB9_128:                              ;   in Loop: Header=BB9_79 Depth=1
	s_delay_alu instid0(SALU_CYCLE_1) | instskip(SKIP_1) | instid1(VALU_DEP_2)
	s_or_b32 exec_lo, exec_lo, s8
	v_dual_lshrrev_b32 v7, 24, v12 :: v_dual_lshrrev_b32 v12, 24, v3
	v_dual_lshrrev_b32 v4, 24, v4 :: v_dual_lshlrev_b32 v6, 24, v6
	v_and_b32_e32 v5, 0x80000000, v5
	s_delay_alu instid0(VALU_DEP_3) | instskip(SKIP_1) | instid1(VALU_DEP_4)
	v_and_b32_e32 v7, 0x80, v7
	v_and_b32_e32 v8, 0xff, v8
	;; [unrolled: 1-line block ×3, first 2 shown]
	s_mov_b32 s9, -1
	s_mov_b32 s8, exec_lo
	v_and_or_b32 v7, 0xff, v13, v7
	v_and_or_b32 v8, 0x80, v12, v8
	;; [unrolled: 1-line block ×3, first 2 shown]
	s_delay_alu instid0(VALU_DEP_3) | instskip(NEXT) | instid1(VALU_DEP_2)
	v_dual_mov_b32 v3, v1 :: v_dual_lshlrev_b32 v7, 16, v7
	v_lshlrev_b32_e32 v9, 8, v4
	v_add_nc_u32_e32 v4, s2, v0
	s_delay_alu instid0(VALU_DEP_3) | instskip(NEXT) | instid1(VALU_DEP_4)
	v_or3_b32 v5, v5, v6, v7
	v_lshl_add_u64 v[6:7], v[2:3], 2, s[0:1]
	s_delay_alu instid0(VALU_DEP_2)
	v_or3_b32 v3, v5, v9, v8
	global_store_b32 v[6:7], v3, off
	s_wait_xcnt 0x0
	v_cmpx_gt_u32_e64 s28, v4
	s_cbranch_execz .LBB9_77
; %bb.129:                              ;   in Loop: Header=BB9_79 Depth=1
	s_clause 0x1
	global_load_b64 v[6:7], v4, s[10:11] scale_offset
	global_load_b64 v[8:9], v4, s[18:19] scale_offset
	s_mov_b32 s9, exec_lo
	s_wait_loadcnt 0x1
	v_fma_mixlo_f16 v3, v10, v6, 0 op_sel_hi:[0,1,0]
	s_wait_loadcnt 0x0
	s_delay_alu instid0(VALU_DEP_1) | instskip(NEXT) | instid1(VALU_DEP_1)
	v_mul_f16_e32 v3, v8, v3
	v_cvt_f32_f16_e32 v3, v3
	s_delay_alu instid0(VALU_DEP_1) | instskip(SKIP_1) | instid1(VALU_DEP_2)
	v_div_scale_f32 v5, null, v11, v11, v3
	v_div_scale_f32 v14, vcc_lo, v3, v11, v3
	v_rcp_f32_e32 v12, v5
	v_nop
	s_delay_alu instid0(TRANS32_DEP_1) | instskip(NEXT) | instid1(VALU_DEP_1)
	v_fma_f32 v13, -v5, v12, 1.0
	v_fmac_f32_e32 v12, v13, v12
	s_delay_alu instid0(VALU_DEP_1) | instskip(NEXT) | instid1(VALU_DEP_1)
	v_mul_f32_e32 v13, v14, v12
	v_fma_f32 v15, -v5, v13, v14
	s_delay_alu instid0(VALU_DEP_1) | instskip(NEXT) | instid1(VALU_DEP_1)
	v_fmac_f32_e32 v13, v15, v12
	v_fma_f32 v5, -v5, v13, v14
	s_delay_alu instid0(VALU_DEP_1) | instskip(SKIP_1) | instid1(VALU_DEP_2)
	v_div_fmas_f32 v5, v5, v12, v13
	v_mov_b32_e32 v12, 0x7f
	v_div_fixup_f32 v3, v5, v11, v3
	v_mov_b32_e32 v5, 0x7f
	s_delay_alu instid0(VALU_DEP_2) | instskip(NEXT) | instid1(VALU_DEP_1)
	v_minmax_num_f32 v3, v3, s5, 0xc3e00000
	v_and_b32_e32 v13, 0x7fffffff, v3
	s_wait_xcnt 0x0
	s_delay_alu instid0(VALU_DEP_1)
	v_cmpx_gt_u32_e32 0x43f00000, v13
	s_cbranch_execz .LBB9_135
; %bb.130:                              ;   in Loop: Header=BB9_79 Depth=1
	s_mov_b32 s12, exec_lo
                                        ; implicit-def: $vgpr5
	v_cmpx_lt_u32_e32 0x3c7fffff, v13
	s_xor_b32 s12, exec_lo, s12
; %bb.131:                              ;   in Loop: Header=BB9_79 Depth=1
	v_bfe_u32 v5, v3, 20, 1
	s_delay_alu instid0(VALU_DEP_1) | instskip(NEXT) | instid1(VALU_DEP_1)
	v_add3_u32 v5, v3, v5, 0x407ffff
	v_lshrrev_b32_e32 v5, 20, v5
; %bb.132:                              ;   in Loop: Header=BB9_79 Depth=1
	s_and_not1_saveexec_b32 s12, s12
; %bb.133:                              ;   in Loop: Header=BB9_79 Depth=1
	v_add_f32_e64 v5, 0x46800000, |v3|
; %bb.134:                              ;   in Loop: Header=BB9_79 Depth=1
	s_or_b32 exec_lo, exec_lo, s12
.LBB9_135:                              ;   in Loop: Header=BB9_79 Depth=1
	s_delay_alu instid0(SALU_CYCLE_1) | instskip(SKIP_3) | instid1(VALU_DEP_1)
	s_or_b32 exec_lo, exec_lo, s9
	v_lshrrev_b32_e32 v8, 16, v8
	v_fma_mixlo_f16 v6, v10, v6, 0 op_sel:[0,1,0] op_sel_hi:[0,1,0]
	s_mov_b32 s9, exec_lo
	v_mul_f16_e32 v6, v8, v6
	s_delay_alu instid0(VALU_DEP_1) | instskip(NEXT) | instid1(VALU_DEP_1)
	v_cvt_f32_f16_e32 v6, v6
	v_div_scale_f32 v8, null, v11, v11, v6
	s_delay_alu instid0(VALU_DEP_1) | instskip(SKIP_1) | instid1(TRANS32_DEP_1)
	v_rcp_f32_e32 v13, v8
	v_nop
	v_fma_f32 v14, -v8, v13, 1.0
	s_delay_alu instid0(VALU_DEP_1) | instskip(SKIP_1) | instid1(VALU_DEP_1)
	v_fmac_f32_e32 v13, v14, v13
	v_div_scale_f32 v14, vcc_lo, v6, v11, v6
	v_mul_f32_e32 v15, v14, v13
	s_delay_alu instid0(VALU_DEP_1) | instskip(NEXT) | instid1(VALU_DEP_1)
	v_fma_f32 v16, -v8, v15, v14
	v_fmac_f32_e32 v15, v16, v13
	s_delay_alu instid0(VALU_DEP_1) | instskip(NEXT) | instid1(VALU_DEP_1)
	v_fma_f32 v8, -v8, v15, v14
	v_div_fmas_f32 v8, v8, v13, v15
	s_delay_alu instid0(VALU_DEP_1) | instskip(NEXT) | instid1(VALU_DEP_1)
	v_div_fixup_f32 v6, v8, v11, v6
	v_minmax_num_f32 v6, v6, s5, 0xc3e00000
	s_delay_alu instid0(VALU_DEP_1) | instskip(NEXT) | instid1(VALU_DEP_1)
	v_and_b32_e32 v8, 0x7fffffff, v6
	v_cmpx_gt_u32_e32 0x43f00000, v8
	s_cbranch_execz .LBB9_141
; %bb.136:                              ;   in Loop: Header=BB9_79 Depth=1
	s_mov_b32 s12, exec_lo
                                        ; implicit-def: $vgpr12
	v_cmpx_lt_u32_e32 0x3c7fffff, v8
	s_xor_b32 s12, exec_lo, s12
; %bb.137:                              ;   in Loop: Header=BB9_79 Depth=1
	v_bfe_u32 v8, v6, 20, 1
	s_delay_alu instid0(VALU_DEP_1) | instskip(NEXT) | instid1(VALU_DEP_1)
	v_add3_u32 v8, v6, v8, 0x407ffff
	v_lshrrev_b32_e32 v12, 20, v8
; %bb.138:                              ;   in Loop: Header=BB9_79 Depth=1
	s_and_not1_saveexec_b32 s12, s12
; %bb.139:                              ;   in Loop: Header=BB9_79 Depth=1
	v_add_f32_e64 v12, 0x46800000, |v6|
; %bb.140:                              ;   in Loop: Header=BB9_79 Depth=1
	s_or_b32 exec_lo, exec_lo, s12
.LBB9_141:                              ;   in Loop: Header=BB9_79 Depth=1
	s_delay_alu instid0(SALU_CYCLE_1) | instskip(SKIP_2) | instid1(VALU_DEP_1)
	s_or_b32 exec_lo, exec_lo, s9
	v_fma_mixlo_f16 v8, v10, v7, 0 op_sel_hi:[0,1,0]
	s_mov_b32 s9, exec_lo
	v_mul_f16_e32 v8, v9, v8
	s_delay_alu instid0(VALU_DEP_1) | instskip(NEXT) | instid1(VALU_DEP_1)
	v_cvt_f32_f16_e32 v8, v8
	v_div_scale_f32 v13, null, v11, v11, v8
	v_div_scale_f32 v16, vcc_lo, v8, v11, v8
	s_delay_alu instid0(VALU_DEP_2) | instskip(SKIP_1) | instid1(TRANS32_DEP_1)
	v_rcp_f32_e32 v14, v13
	v_nop
	v_fma_f32 v15, -v13, v14, 1.0
	s_delay_alu instid0(VALU_DEP_1) | instskip(NEXT) | instid1(VALU_DEP_1)
	v_fmac_f32_e32 v14, v15, v14
	v_mul_f32_e32 v15, v16, v14
	s_delay_alu instid0(VALU_DEP_1) | instskip(NEXT) | instid1(VALU_DEP_1)
	v_fma_f32 v17, -v13, v15, v16
	v_fmac_f32_e32 v15, v17, v14
	s_delay_alu instid0(VALU_DEP_1) | instskip(NEXT) | instid1(VALU_DEP_1)
	v_fma_f32 v13, -v13, v15, v16
	v_div_fmas_f32 v13, v13, v14, v15
	v_mov_b32_e32 v14, 0x7f
	s_delay_alu instid0(VALU_DEP_2) | instskip(NEXT) | instid1(VALU_DEP_1)
	v_div_fixup_f32 v8, v13, v11, v8
	v_minmax_num_f32 v13, v8, s5, 0xc3e00000
	v_mov_b32_e32 v8, 0x7f
	s_delay_alu instid0(VALU_DEP_2) | instskip(NEXT) | instid1(VALU_DEP_1)
	v_and_b32_e32 v15, 0x7fffffff, v13
	v_cmpx_gt_u32_e32 0x43f00000, v15
	s_cbranch_execz .LBB9_147
; %bb.142:                              ;   in Loop: Header=BB9_79 Depth=1
	s_mov_b32 s12, exec_lo
                                        ; implicit-def: $vgpr14
	v_cmpx_lt_u32_e32 0x3c7fffff, v15
	s_xor_b32 s12, exec_lo, s12
; %bb.143:                              ;   in Loop: Header=BB9_79 Depth=1
	v_bfe_u32 v14, v13, 20, 1
	s_delay_alu instid0(VALU_DEP_1) | instskip(NEXT) | instid1(VALU_DEP_1)
	v_add3_u32 v14, v13, v14, 0x407ffff
	v_lshrrev_b32_e32 v14, 20, v14
; %bb.144:                              ;   in Loop: Header=BB9_79 Depth=1
	s_and_not1_saveexec_b32 s12, s12
; %bb.145:                              ;   in Loop: Header=BB9_79 Depth=1
	v_add_f32_e64 v14, 0x46800000, |v13|
; %bb.146:                              ;   in Loop: Header=BB9_79 Depth=1
	s_or_b32 exec_lo, exec_lo, s12
.LBB9_147:                              ;   in Loop: Header=BB9_79 Depth=1
	s_delay_alu instid0(SALU_CYCLE_1) | instskip(SKIP_3) | instid1(VALU_DEP_1)
	s_or_b32 exec_lo, exec_lo, s9
	v_lshrrev_b32_e32 v9, 16, v9
	v_fma_mixlo_f16 v7, v10, v7, 0 op_sel:[0,1,0] op_sel_hi:[0,1,0]
	s_mov_b32 s9, exec_lo
	v_mul_f16_e32 v7, v9, v7
	s_delay_alu instid0(VALU_DEP_1) | instskip(NEXT) | instid1(VALU_DEP_1)
	v_cvt_f32_f16_e32 v7, v7
	v_div_scale_f32 v9, null, v11, v11, v7
	s_delay_alu instid0(VALU_DEP_1) | instskip(SKIP_1) | instid1(TRANS32_DEP_1)
	v_rcp_f32_e32 v15, v9
	v_nop
	v_fma_f32 v16, -v9, v15, 1.0
	s_delay_alu instid0(VALU_DEP_1) | instskip(SKIP_1) | instid1(VALU_DEP_1)
	v_fmac_f32_e32 v15, v16, v15
	v_div_scale_f32 v16, vcc_lo, v7, v11, v7
	v_mul_f32_e32 v17, v16, v15
	s_delay_alu instid0(VALU_DEP_1) | instskip(NEXT) | instid1(VALU_DEP_1)
	v_fma_f32 v18, -v9, v17, v16
	v_fmac_f32_e32 v17, v18, v15
	s_delay_alu instid0(VALU_DEP_1) | instskip(NEXT) | instid1(VALU_DEP_1)
	v_fma_f32 v9, -v9, v17, v16
	v_div_fmas_f32 v9, v9, v15, v17
	s_delay_alu instid0(VALU_DEP_1) | instskip(NEXT) | instid1(VALU_DEP_1)
	v_div_fixup_f32 v7, v9, v11, v7
	v_minmax_num_f32 v7, v7, s5, 0xc3e00000
	s_delay_alu instid0(VALU_DEP_1) | instskip(NEXT) | instid1(VALU_DEP_1)
	v_and_b32_e32 v9, 0x7fffffff, v7
	v_cmpx_gt_u32_e32 0x43f00000, v9
	s_cbranch_execz .LBB9_153
; %bb.148:                              ;   in Loop: Header=BB9_79 Depth=1
	s_mov_b32 s12, exec_lo
                                        ; implicit-def: $vgpr8
	v_cmpx_lt_u32_e32 0x3c7fffff, v9
	s_xor_b32 s12, exec_lo, s12
; %bb.149:                              ;   in Loop: Header=BB9_79 Depth=1
	v_bfe_u32 v8, v7, 20, 1
	s_delay_alu instid0(VALU_DEP_1) | instskip(NEXT) | instid1(VALU_DEP_1)
	v_add3_u32 v8, v7, v8, 0x407ffff
	v_lshrrev_b32_e32 v8, 20, v8
; %bb.150:                              ;   in Loop: Header=BB9_79 Depth=1
	s_and_not1_saveexec_b32 s12, s12
; %bb.151:                              ;   in Loop: Header=BB9_79 Depth=1
	v_add_f32_e64 v8, 0x46800000, |v7|
; %bb.152:                              ;   in Loop: Header=BB9_79 Depth=1
	s_or_b32 exec_lo, exec_lo, s12
.LBB9_153:                              ;   in Loop: Header=BB9_79 Depth=1
	s_delay_alu instid0(SALU_CYCLE_1) | instskip(SKIP_1) | instid1(VALU_DEP_2)
	s_or_b32 exec_lo, exec_lo, s9
	v_dual_lshrrev_b32 v9, 24, v13 :: v_dual_lshrrev_b32 v6, 24, v6
	v_dual_lshrrev_b32 v3, 24, v3 :: v_dual_lshlrev_b32 v8, 24, v8
	v_and_b32_e32 v7, 0x80000000, v7
	s_delay_alu instid0(VALU_DEP_3) | instskip(NEXT) | instid1(VALU_DEP_4)
	v_and_b32_e32 v9, 0x80, v9
	v_and_b32_e32 v6, 0x80, v6
	s_mov_b32 s12, -1
	s_mov_b32 s9, exec_lo
	v_add_nc_u32_e32 v0, s3, v0
	v_and_or_b32 v9, 0xff, v14, v9
	v_and_or_b32 v6, 0xff, v12, v6
	v_and_b32_e32 v12, 0xff, v5
	s_delay_alu instid0(VALU_DEP_3) | instskip(NEXT) | instid1(VALU_DEP_3)
	v_dual_mov_b32 v5, v1 :: v_dual_lshlrev_b32 v9, 16, v9
	v_lshlrev_b32_e32 v6, 8, v6
	s_delay_alu instid0(VALU_DEP_3) | instskip(NEXT) | instid1(VALU_DEP_3)
	v_and_or_b32 v3, 0x80, v3, v12
	v_lshl_add_u64 v[4:5], v[4:5], 2, s[0:1]
	s_delay_alu instid0(VALU_DEP_4) | instskip(NEXT) | instid1(VALU_DEP_1)
	v_or3_b32 v7, v7, v8, v9
	v_or3_b32 v3, v7, v6, v3
	global_store_b32 v[4:5], v3, off
	s_wait_xcnt 0x0
	v_cmpx_gt_u32_e64 s28, v0
	s_cbranch_execz .LBB9_76
; %bb.154:                              ;   in Loop: Header=BB9_79 Depth=1
	s_clause 0x1
	global_load_b64 v[4:5], v0, s[10:11] scale_offset
	global_load_b64 v[6:7], v0, s[18:19] scale_offset
	s_mov_b32 s12, exec_lo
	s_wait_loadcnt 0x1
	v_fma_mixlo_f16 v3, v10, v4, 0 op_sel_hi:[0,1,0]
	s_wait_loadcnt 0x0
	s_delay_alu instid0(VALU_DEP_1) | instskip(NEXT) | instid1(VALU_DEP_1)
	v_mul_f16_e32 v3, v6, v3
	v_cvt_f32_f16_e32 v3, v3
	s_delay_alu instid0(VALU_DEP_1) | instskip(SKIP_1) | instid1(VALU_DEP_2)
	v_div_scale_f32 v8, null, v11, v11, v3
	v_div_scale_f32 v13, vcc_lo, v3, v11, v3
	v_rcp_f32_e32 v9, v8
	v_nop
	s_delay_alu instid0(TRANS32_DEP_1) | instskip(NEXT) | instid1(VALU_DEP_1)
	v_fma_f32 v12, -v8, v9, 1.0
	v_fmac_f32_e32 v9, v12, v9
	s_delay_alu instid0(VALU_DEP_1) | instskip(NEXT) | instid1(VALU_DEP_1)
	v_mul_f32_e32 v12, v13, v9
	v_fma_f32 v14, -v8, v12, v13
	s_delay_alu instid0(VALU_DEP_1) | instskip(NEXT) | instid1(VALU_DEP_1)
	v_fmac_f32_e32 v12, v14, v9
	v_fma_f32 v8, -v8, v12, v13
	s_delay_alu instid0(VALU_DEP_1) | instskip(SKIP_1) | instid1(VALU_DEP_2)
	v_div_fmas_f32 v8, v8, v9, v12
	v_mov_b32_e32 v9, 0x7f
	v_div_fixup_f32 v3, v8, v11, v3
	v_mov_b32_e32 v8, 0x7f
	s_delay_alu instid0(VALU_DEP_2) | instskip(NEXT) | instid1(VALU_DEP_1)
	v_minmax_num_f32 v3, v3, s5, 0xc3e00000
	v_and_b32_e32 v12, 0x7fffffff, v3
	s_wait_xcnt 0x0
	s_delay_alu instid0(VALU_DEP_1)
	v_cmpx_gt_u32_e32 0x43f00000, v12
	s_cbranch_execz .LBB9_160
; %bb.155:                              ;   in Loop: Header=BB9_79 Depth=1
	s_mov_b32 s13, exec_lo
                                        ; implicit-def: $vgpr8
	v_cmpx_lt_u32_e32 0x3c7fffff, v12
	s_xor_b32 s13, exec_lo, s13
; %bb.156:                              ;   in Loop: Header=BB9_79 Depth=1
	v_bfe_u32 v8, v3, 20, 1
	s_delay_alu instid0(VALU_DEP_1) | instskip(NEXT) | instid1(VALU_DEP_1)
	v_add3_u32 v8, v3, v8, 0x407ffff
	v_lshrrev_b32_e32 v8, 20, v8
; %bb.157:                              ;   in Loop: Header=BB9_79 Depth=1
	s_and_not1_saveexec_b32 s13, s13
; %bb.158:                              ;   in Loop: Header=BB9_79 Depth=1
	v_add_f32_e64 v8, 0x46800000, |v3|
; %bb.159:                              ;   in Loop: Header=BB9_79 Depth=1
	s_or_b32 exec_lo, exec_lo, s13
.LBB9_160:                              ;   in Loop: Header=BB9_79 Depth=1
	s_delay_alu instid0(SALU_CYCLE_1) | instskip(SKIP_3) | instid1(VALU_DEP_1)
	s_or_b32 exec_lo, exec_lo, s12
	v_lshrrev_b32_e32 v6, 16, v6
	v_fma_mixlo_f16 v4, v10, v4, 0 op_sel:[0,1,0] op_sel_hi:[0,1,0]
	s_mov_b32 s12, exec_lo
	v_mul_f16_e32 v4, v6, v4
	s_delay_alu instid0(VALU_DEP_1) | instskip(NEXT) | instid1(VALU_DEP_1)
	v_cvt_f32_f16_e32 v4, v4
	v_div_scale_f32 v6, null, v11, v11, v4
	s_delay_alu instid0(VALU_DEP_1) | instskip(SKIP_1) | instid1(TRANS32_DEP_1)
	v_rcp_f32_e32 v12, v6
	v_nop
	v_fma_f32 v13, -v6, v12, 1.0
	s_delay_alu instid0(VALU_DEP_1) | instskip(SKIP_1) | instid1(VALU_DEP_1)
	v_fmac_f32_e32 v12, v13, v12
	v_div_scale_f32 v13, vcc_lo, v4, v11, v4
	v_mul_f32_e32 v14, v13, v12
	s_delay_alu instid0(VALU_DEP_1) | instskip(NEXT) | instid1(VALU_DEP_1)
	v_fma_f32 v15, -v6, v14, v13
	v_fmac_f32_e32 v14, v15, v12
	s_delay_alu instid0(VALU_DEP_1) | instskip(NEXT) | instid1(VALU_DEP_1)
	v_fma_f32 v6, -v6, v14, v13
	v_div_fmas_f32 v6, v6, v12, v14
	s_delay_alu instid0(VALU_DEP_1) | instskip(NEXT) | instid1(VALU_DEP_1)
	v_div_fixup_f32 v4, v6, v11, v4
	v_minmax_num_f32 v4, v4, s5, 0xc3e00000
	s_delay_alu instid0(VALU_DEP_1) | instskip(NEXT) | instid1(VALU_DEP_1)
	v_and_b32_e32 v6, 0x7fffffff, v4
	v_cmpx_gt_u32_e32 0x43f00000, v6
	s_cbranch_execz .LBB9_166
; %bb.161:                              ;   in Loop: Header=BB9_79 Depth=1
	s_mov_b32 s13, exec_lo
                                        ; implicit-def: $vgpr9
	v_cmpx_lt_u32_e32 0x3c7fffff, v6
	s_xor_b32 s13, exec_lo, s13
; %bb.162:                              ;   in Loop: Header=BB9_79 Depth=1
	v_bfe_u32 v6, v4, 20, 1
	s_delay_alu instid0(VALU_DEP_1) | instskip(NEXT) | instid1(VALU_DEP_1)
	v_add3_u32 v6, v4, v6, 0x407ffff
	v_lshrrev_b32_e32 v9, 20, v6
; %bb.163:                              ;   in Loop: Header=BB9_79 Depth=1
	s_and_not1_saveexec_b32 s13, s13
; %bb.164:                              ;   in Loop: Header=BB9_79 Depth=1
	v_add_f32_e64 v9, 0x46800000, |v4|
; %bb.165:                              ;   in Loop: Header=BB9_79 Depth=1
	s_or_b32 exec_lo, exec_lo, s13
.LBB9_166:                              ;   in Loop: Header=BB9_79 Depth=1
	s_delay_alu instid0(SALU_CYCLE_1) | instskip(SKIP_2) | instid1(VALU_DEP_1)
	s_or_b32 exec_lo, exec_lo, s12
	v_fma_mixlo_f16 v6, v10, v5, 0 op_sel_hi:[0,1,0]
	s_mov_b32 s12, exec_lo
	v_mul_f16_e32 v6, v7, v6
	s_delay_alu instid0(VALU_DEP_1) | instskip(NEXT) | instid1(VALU_DEP_1)
	v_cvt_f32_f16_e32 v6, v6
	v_div_scale_f32 v12, null, v11, v11, v6
	v_div_scale_f32 v15, vcc_lo, v6, v11, v6
	s_delay_alu instid0(VALU_DEP_2) | instskip(SKIP_1) | instid1(TRANS32_DEP_1)
	v_rcp_f32_e32 v13, v12
	v_nop
	v_fma_f32 v14, -v12, v13, 1.0
	s_delay_alu instid0(VALU_DEP_1) | instskip(NEXT) | instid1(VALU_DEP_1)
	v_fmac_f32_e32 v13, v14, v13
	v_mul_f32_e32 v14, v15, v13
	s_delay_alu instid0(VALU_DEP_1) | instskip(NEXT) | instid1(VALU_DEP_1)
	v_fma_f32 v16, -v12, v14, v15
	v_fmac_f32_e32 v14, v16, v13
	s_delay_alu instid0(VALU_DEP_1) | instskip(NEXT) | instid1(VALU_DEP_1)
	v_fma_f32 v12, -v12, v14, v15
	v_div_fmas_f32 v12, v12, v13, v14
	v_mov_b32_e32 v13, 0x7f
	s_delay_alu instid0(VALU_DEP_2) | instskip(NEXT) | instid1(VALU_DEP_1)
	v_div_fixup_f32 v6, v12, v11, v6
	v_minmax_num_f32 v12, v6, s5, 0xc3e00000
	v_mov_b32_e32 v6, 0x7f
	s_delay_alu instid0(VALU_DEP_2) | instskip(NEXT) | instid1(VALU_DEP_1)
	v_and_b32_e32 v14, 0x7fffffff, v12
	v_cmpx_gt_u32_e32 0x43f00000, v14
	s_cbranch_execz .LBB9_172
; %bb.167:                              ;   in Loop: Header=BB9_79 Depth=1
	s_mov_b32 s13, exec_lo
                                        ; implicit-def: $vgpr13
	v_cmpx_lt_u32_e32 0x3c7fffff, v14
	s_xor_b32 s13, exec_lo, s13
; %bb.168:                              ;   in Loop: Header=BB9_79 Depth=1
	v_bfe_u32 v13, v12, 20, 1
	s_delay_alu instid0(VALU_DEP_1) | instskip(NEXT) | instid1(VALU_DEP_1)
	v_add3_u32 v13, v12, v13, 0x407ffff
	v_lshrrev_b32_e32 v13, 20, v13
; %bb.169:                              ;   in Loop: Header=BB9_79 Depth=1
	s_and_not1_saveexec_b32 s13, s13
; %bb.170:                              ;   in Loop: Header=BB9_79 Depth=1
	v_add_f32_e64 v13, 0x46800000, |v12|
; %bb.171:                              ;   in Loop: Header=BB9_79 Depth=1
	s_or_b32 exec_lo, exec_lo, s13
.LBB9_172:                              ;   in Loop: Header=BB9_79 Depth=1
	s_delay_alu instid0(SALU_CYCLE_1) | instskip(SKIP_3) | instid1(VALU_DEP_1)
	s_or_b32 exec_lo, exec_lo, s12
	v_lshrrev_b32_e32 v7, 16, v7
	v_fma_mixlo_f16 v5, v10, v5, 0 op_sel:[0,1,0] op_sel_hi:[0,1,0]
	s_mov_b32 s12, exec_lo
	v_mul_f16_e32 v5, v7, v5
	s_delay_alu instid0(VALU_DEP_1) | instskip(NEXT) | instid1(VALU_DEP_1)
	v_cvt_f32_f16_e32 v5, v5
	v_div_scale_f32 v7, null, v11, v11, v5
	s_delay_alu instid0(VALU_DEP_1) | instskip(SKIP_1) | instid1(TRANS32_DEP_1)
	v_rcp_f32_e32 v14, v7
	v_nop
	v_fma_f32 v15, -v7, v14, 1.0
	s_delay_alu instid0(VALU_DEP_1) | instskip(SKIP_1) | instid1(VALU_DEP_1)
	v_fmac_f32_e32 v14, v15, v14
	v_div_scale_f32 v15, vcc_lo, v5, v11, v5
	v_mul_f32_e32 v16, v15, v14
	s_delay_alu instid0(VALU_DEP_1) | instskip(NEXT) | instid1(VALU_DEP_1)
	v_fma_f32 v17, -v7, v16, v15
	v_fmac_f32_e32 v16, v17, v14
	s_delay_alu instid0(VALU_DEP_1) | instskip(NEXT) | instid1(VALU_DEP_1)
	v_fma_f32 v7, -v7, v16, v15
	v_div_fmas_f32 v7, v7, v14, v16
	s_delay_alu instid0(VALU_DEP_1) | instskip(NEXT) | instid1(VALU_DEP_1)
	v_div_fixup_f32 v5, v7, v11, v5
	v_minmax_num_f32 v5, v5, s5, 0xc3e00000
	s_delay_alu instid0(VALU_DEP_1) | instskip(NEXT) | instid1(VALU_DEP_1)
	v_and_b32_e32 v7, 0x7fffffff, v5
	v_cmpx_gt_u32_e32 0x43f00000, v7
	s_cbranch_execz .LBB9_75
; %bb.173:                              ;   in Loop: Header=BB9_79 Depth=1
	s_mov_b32 s13, exec_lo
                                        ; implicit-def: $vgpr6
	v_cmpx_lt_u32_e32 0x3c7fffff, v7
	s_xor_b32 s13, exec_lo, s13
; %bb.174:                              ;   in Loop: Header=BB9_79 Depth=1
	v_bfe_u32 v6, v5, 20, 1
	s_delay_alu instid0(VALU_DEP_1) | instskip(NEXT) | instid1(VALU_DEP_1)
	v_add3_u32 v6, v5, v6, 0x407ffff
	v_lshrrev_b32_e32 v6, 20, v6
; %bb.175:                              ;   in Loop: Header=BB9_79 Depth=1
	s_and_not1_saveexec_b32 s13, s13
	s_cbranch_execz .LBB9_74
; %bb.176:                              ;   in Loop: Header=BB9_79 Depth=1
	v_add_f32_e64 v6, 0x46800000, |v5|
	s_branch .LBB9_74
.LBB9_177:
	s_endpgm
	.section	.rodata,"a",@progbits
	.p2align	6, 0x0
	.amdhsa_kernel _ZN4vllm39rms_norm_dynamic_per_token_quant_kernelIN3c104HalfENS1_13Float8_e4m3fnELb0EEEvPT0_PfPKT_S9_PKffiPS7_
		.amdhsa_group_segment_fixed_size 272
		.amdhsa_private_segment_fixed_size 0
		.amdhsa_kernarg_size 312
		.amdhsa_user_sgpr_count 2
		.amdhsa_user_sgpr_dispatch_ptr 0
		.amdhsa_user_sgpr_queue_ptr 0
		.amdhsa_user_sgpr_kernarg_segment_ptr 1
		.amdhsa_user_sgpr_dispatch_id 0
		.amdhsa_user_sgpr_kernarg_preload_length 0
		.amdhsa_user_sgpr_kernarg_preload_offset 0
		.amdhsa_user_sgpr_private_segment_size 0
		.amdhsa_wavefront_size32 1
		.amdhsa_uses_dynamic_stack 0
		.amdhsa_enable_private_segment 0
		.amdhsa_system_sgpr_workgroup_id_x 1
		.amdhsa_system_sgpr_workgroup_id_y 0
		.amdhsa_system_sgpr_workgroup_id_z 0
		.amdhsa_system_sgpr_workgroup_info 0
		.amdhsa_system_vgpr_workitem_id 0
		.amdhsa_next_free_vgpr 24
		.amdhsa_next_free_sgpr 37
		.amdhsa_named_barrier_count 0
		.amdhsa_reserve_vcc 1
		.amdhsa_float_round_mode_32 0
		.amdhsa_float_round_mode_16_64 0
		.amdhsa_float_denorm_mode_32 3
		.amdhsa_float_denorm_mode_16_64 3
		.amdhsa_fp16_overflow 0
		.amdhsa_memory_ordered 1
		.amdhsa_forward_progress 1
		.amdhsa_inst_pref_size 86
		.amdhsa_round_robin_scheduling 0
		.amdhsa_exception_fp_ieee_invalid_op 0
		.amdhsa_exception_fp_denorm_src 0
		.amdhsa_exception_fp_ieee_div_zero 0
		.amdhsa_exception_fp_ieee_overflow 0
		.amdhsa_exception_fp_ieee_underflow 0
		.amdhsa_exception_fp_ieee_inexact 0
		.amdhsa_exception_int_div_zero 0
	.end_amdhsa_kernel
	.section	.text._ZN4vllm39rms_norm_dynamic_per_token_quant_kernelIN3c104HalfENS1_13Float8_e4m3fnELb0EEEvPT0_PfPKT_S9_PKffiPS7_,"axG",@progbits,_ZN4vllm39rms_norm_dynamic_per_token_quant_kernelIN3c104HalfENS1_13Float8_e4m3fnELb0EEEvPT0_PfPKT_S9_PKffiPS7_,comdat
.Lfunc_end9:
	.size	_ZN4vllm39rms_norm_dynamic_per_token_quant_kernelIN3c104HalfENS1_13Float8_e4m3fnELb0EEEvPT0_PfPKT_S9_PKffiPS7_, .Lfunc_end9-_ZN4vllm39rms_norm_dynamic_per_token_quant_kernelIN3c104HalfENS1_13Float8_e4m3fnELb0EEEvPT0_PfPKT_S9_PKffiPS7_
                                        ; -- End function
	.set _ZN4vllm39rms_norm_dynamic_per_token_quant_kernelIN3c104HalfENS1_13Float8_e4m3fnELb0EEEvPT0_PfPKT_S9_PKffiPS7_.num_vgpr, 24
	.set _ZN4vllm39rms_norm_dynamic_per_token_quant_kernelIN3c104HalfENS1_13Float8_e4m3fnELb0EEEvPT0_PfPKT_S9_PKffiPS7_.num_agpr, 0
	.set _ZN4vllm39rms_norm_dynamic_per_token_quant_kernelIN3c104HalfENS1_13Float8_e4m3fnELb0EEEvPT0_PfPKT_S9_PKffiPS7_.numbered_sgpr, 37
	.set _ZN4vllm39rms_norm_dynamic_per_token_quant_kernelIN3c104HalfENS1_13Float8_e4m3fnELb0EEEvPT0_PfPKT_S9_PKffiPS7_.num_named_barrier, 0
	.set _ZN4vllm39rms_norm_dynamic_per_token_quant_kernelIN3c104HalfENS1_13Float8_e4m3fnELb0EEEvPT0_PfPKT_S9_PKffiPS7_.private_seg_size, 0
	.set _ZN4vllm39rms_norm_dynamic_per_token_quant_kernelIN3c104HalfENS1_13Float8_e4m3fnELb0EEEvPT0_PfPKT_S9_PKffiPS7_.uses_vcc, 1
	.set _ZN4vllm39rms_norm_dynamic_per_token_quant_kernelIN3c104HalfENS1_13Float8_e4m3fnELb0EEEvPT0_PfPKT_S9_PKffiPS7_.uses_flat_scratch, 0
	.set _ZN4vllm39rms_norm_dynamic_per_token_quant_kernelIN3c104HalfENS1_13Float8_e4m3fnELb0EEEvPT0_PfPKT_S9_PKffiPS7_.has_dyn_sized_stack, 0
	.set _ZN4vllm39rms_norm_dynamic_per_token_quant_kernelIN3c104HalfENS1_13Float8_e4m3fnELb0EEEvPT0_PfPKT_S9_PKffiPS7_.has_recursion, 0
	.set _ZN4vllm39rms_norm_dynamic_per_token_quant_kernelIN3c104HalfENS1_13Float8_e4m3fnELb0EEEvPT0_PfPKT_S9_PKffiPS7_.has_indirect_call, 0
	.section	.AMDGPU.csdata,"",@progbits
; Kernel info:
; codeLenInByte = 10920
; TotalNumSgprs: 39
; NumVgprs: 24
; ScratchSize: 0
; MemoryBound: 0
; FloatMode: 240
; IeeeMode: 1
; LDSByteSize: 272 bytes/workgroup (compile time only)
; SGPRBlocks: 0
; VGPRBlocks: 1
; NumSGPRsForWavesPerEU: 39
; NumVGPRsForWavesPerEU: 24
; NamedBarCnt: 0
; Occupancy: 16
; WaveLimiterHint : 0
; COMPUTE_PGM_RSRC2:SCRATCH_EN: 0
; COMPUTE_PGM_RSRC2:USER_SGPR: 2
; COMPUTE_PGM_RSRC2:TRAP_HANDLER: 0
; COMPUTE_PGM_RSRC2:TGID_X_EN: 1
; COMPUTE_PGM_RSRC2:TGID_Y_EN: 0
; COMPUTE_PGM_RSRC2:TGID_Z_EN: 0
; COMPUTE_PGM_RSRC2:TIDIG_COMP_CNT: 0
	.section	.text._ZN4vllm39rms_norm_dynamic_per_token_quant_kernelIN3c104HalfENS1_15Float8_e4m3fnuzELb0EEEvPT0_PfPKT_S9_PKffiPS7_,"axG",@progbits,_ZN4vllm39rms_norm_dynamic_per_token_quant_kernelIN3c104HalfENS1_15Float8_e4m3fnuzELb0EEEvPT0_PfPKT_S9_PKffiPS7_,comdat
	.protected	_ZN4vllm39rms_norm_dynamic_per_token_quant_kernelIN3c104HalfENS1_15Float8_e4m3fnuzELb0EEEvPT0_PfPKT_S9_PKffiPS7_ ; -- Begin function _ZN4vllm39rms_norm_dynamic_per_token_quant_kernelIN3c104HalfENS1_15Float8_e4m3fnuzELb0EEEvPT0_PfPKT_S9_PKffiPS7_
	.globl	_ZN4vllm39rms_norm_dynamic_per_token_quant_kernelIN3c104HalfENS1_15Float8_e4m3fnuzELb0EEEvPT0_PfPKT_S9_PKffiPS7_
	.p2align	8
	.type	_ZN4vllm39rms_norm_dynamic_per_token_quant_kernelIN3c104HalfENS1_15Float8_e4m3fnuzELb0EEEvPT0_PfPKT_S9_PKffiPS7_,@function
_ZN4vllm39rms_norm_dynamic_per_token_quant_kernelIN3c104HalfENS1_15Float8_e4m3fnuzELb0EEEvPT0_PfPKT_S9_PKffiPS7_: ; @_ZN4vllm39rms_norm_dynamic_per_token_quant_kernelIN3c104HalfENS1_15Float8_e4m3fnuzELb0EEEvPT0_PfPKT_S9_PKffiPS7_
; %bb.0:
	s_clause 0x1
	s_load_b128 s[20:23], s[0:1], 0x20
	s_load_b256 s[12:19], s[0:1], 0x0
	s_getreg_b32 s26, hwreg(HW_REG_IB_STS2, 6, 4)
	s_wait_kmcnt 0x0
	s_and_b32 s2, s23, 3
	s_delay_alu instid0(SALU_CYCLE_1)
	s_cmp_lg_u32 s2, 0
	s_cbranch_scc0 .LBB10_39
; %bb.1:
	s_bfe_u32 s2, ttmp6, 0x4000c
	s_and_b32 s3, ttmp6, 15
	s_add_co_i32 s2, s2, 1
	s_delay_alu instid0(SALU_CYCLE_1)
	s_mul_i32 s4, ttmp9, s2
	v_cmp_gt_u32_e64 s2, s23, v0
	s_add_co_i32 s4, s3, s4
	v_cmp_le_u32_e64 s3, s23, v0
	s_cmp_eq_u32 s26, 0
	s_cselect_b32 s24, ttmp9, s4
                                        ; implicit-def: $sgpr4_sgpr5
	s_and_saveexec_b32 s6, s3
	s_delay_alu instid0(SALU_CYCLE_1)
	s_xor_b32 s6, exec_lo, s6
; %bb.2:
	s_add_nc_u64 s[4:5], s[0:1], 56
; %bb.3:
	s_or_saveexec_b32 s8, s6
	v_mov_b64_e32 v[2:3], s[4:5]
	v_mov_b32_e32 v5, 0
	s_xor_b32 exec_lo, exec_lo, s8
	s_cbranch_execz .LBB10_7
; %bb.4:
	s_load_b32 s9, s[0:1], 0x44
	s_ashr_i32 s5, s23, 31
	s_mov_b32 s4, s23
	s_mov_b32 s25, 0
	v_dual_mov_b32 v5, 0 :: v_dual_mov_b32 v1, v0
	s_mul_u64 s[4:5], s[4:5], s[24:25]
	s_delay_alu instid0(SALU_CYCLE_1) | instskip(NEXT) | instid1(SALU_CYCLE_1)
	s_lshl_b64 s[4:5], s[4:5], 1
	s_add_nc_u64 s[6:7], s[16:17], s[4:5]
	s_add_nc_u64 s[4:5], s[0:1], 56
	s_wait_kmcnt 0x0
	s_and_b32 s9, s9, 0xffff
.LBB10_5:                               ; =>This Inner Loop Header: Depth=1
	global_load_u16 v2, v1, s[6:7] scale_offset
	s_wait_xcnt 0x0
	v_add_nc_u32_e32 v1, s9, v1
	s_delay_alu instid0(VALU_DEP_1)
	v_cmp_le_u32_e32 vcc_lo, s23, v1
	s_or_b32 s25, vcc_lo, s25
	s_wait_loadcnt 0x0
	v_fma_mix_f32 v5, v2, v2, v5 op_sel_hi:[1,1,0]
	s_and_not1_b32 exec_lo, exec_lo, s25
	s_cbranch_execnz .LBB10_5
; %bb.6:
	s_or_b32 exec_lo, exec_lo, s25
	v_mov_b64_e32 v[2:3], s[4:5]
.LBB10_7:
	s_or_b32 exec_lo, exec_lo, s8
	global_load_b32 v1, v[2:3], off
	v_mov_b32_e32 v7, 0
	v_mbcnt_lo_u32_b32 v4, -1, 0
	v_and_b32_e32 v10, 0x3c0, v0
	s_delay_alu instid0(VALU_DEP_2)
	v_cmp_eq_u32_e64 s4, 0, v4
	v_dual_add_nc_u32 v13, 2, v4 :: v_dual_add_nc_u32 v15, 4, v4
	v_dual_add_nc_u32 v18, 8, v4 :: v_dual_add_nc_u32 v17, 16, v4
	v_or_b32_e32 v19, 32, v4
	s_wait_loadcnt 0x0
	v_cmp_lt_u32_e32 vcc_lo, s24, v1
	v_cndmask_b32_e64 v6, 18, 12, vcc_lo
	v_cmp_ne_u32_e32 vcc_lo, 63, v4
	s_delay_alu instid0(VALU_DEP_2)
	v_add_nc_u64_e32 v[2:3], v[2:3], v[6:7]
	v_lshlrev_b32_e32 v7, 2, v4
	global_load_u16 v1, v[2:3], off
	s_wait_xcnt 0x0
	v_add_co_ci_u32_e64 v2, null, 0, v4, vcc_lo
	v_cmp_gt_u32_e32 vcc_lo, 62, v4
	s_delay_alu instid0(VALU_DEP_2)
	v_lshlrev_b32_e32 v9, 2, v2
	v_cndmask_b32_e64 v3, 0, 2, vcc_lo
	ds_bpermute_b32 v2, v9, v5
	v_add_nc_u32_e32 v8, 1, v4
	v_add_lshl_u32 v11, v3, v4, 2
	s_wait_dscnt 0x0
	v_add_f32_e32 v2, v5, v2
	s_wait_loadcnt 0x0
	v_sub_nc_u32_e64 v6, v1, v10 clamp
	s_delay_alu instid0(VALU_DEP_1) | instskip(NEXT) | instid1(VALU_DEP_3)
	v_cmp_lt_u32_e32 vcc_lo, v8, v6
	v_cndmask_b32_e32 v2, v5, v2, vcc_lo
	v_cmp_gt_u32_e32 vcc_lo, 60, v4
	ds_bpermute_b32 v3, v11, v2
	v_cndmask_b32_e64 v5, 0, 4, vcc_lo
	v_cmp_lt_u32_e32 vcc_lo, v13, v6
	s_delay_alu instid0(VALU_DEP_2) | instskip(SKIP_2) | instid1(VALU_DEP_1)
	v_add_lshl_u32 v12, v5, v4, 2
	s_wait_dscnt 0x0
	v_add_f32_e32 v3, v2, v3
	v_cndmask_b32_e32 v2, v2, v3, vcc_lo
	v_cmp_gt_u32_e32 vcc_lo, 56, v4
	ds_bpermute_b32 v3, v12, v2
	v_cndmask_b32_e64 v5, 0, 8, vcc_lo
	v_cmp_lt_u32_e32 vcc_lo, v15, v6
	s_delay_alu instid0(VALU_DEP_2) | instskip(SKIP_2) | instid1(VALU_DEP_1)
	v_add_lshl_u32 v14, v5, v4, 2
	s_wait_dscnt 0x0
	v_add_f32_e32 v3, v2, v3
	;; [unrolled: 9-line block ×3, first 2 shown]
	v_cndmask_b32_e32 v2, v2, v3, vcc_lo
	v_cmp_lt_u32_e32 vcc_lo, v17, v6
	ds_bpermute_b32 v3, v16, v2
	s_wait_dscnt 0x0
	v_add_f32_e32 v3, v2, v3
	s_delay_alu instid0(VALU_DEP_1) | instskip(SKIP_4) | instid1(VALU_DEP_1)
	v_cndmask_b32_e32 v2, v2, v3, vcc_lo
	v_cmp_lt_u32_e32 vcc_lo, v19, v6
	ds_bpermute_b32 v3, v7, v2 offset:128
	s_wait_dscnt 0x0
	v_add_f32_e32 v3, v2, v3
	v_cndmask_b32_e32 v2, v2, v3, vcc_lo
	s_and_saveexec_b32 s5, s4
; %bb.8:
	v_lshrrev_b32_e32 v3, 4, v0
	s_delay_alu instid0(VALU_DEP_1)
	v_and_b32_e32 v3, 60, v3
	ds_store_b32 v3, v2 offset:128
; %bb.9:
	s_or_b32 exec_lo, exec_lo, s5
	v_cmp_gt_u32_e64 s5, 16, v0
	v_and_b32_e32 v5, 15, v4
	v_or_b32_e32 v6, 32, v7
	s_wait_dscnt 0x0
	s_barrier_signal -1
	s_barrier_wait -1
	s_and_saveexec_b32 s7, s5
	s_cbranch_execz .LBB10_11
; %bb.10:
	ds_load_b32 v2, v7 offset:128
	v_cmp_ne_u32_e32 vcc_lo, 15, v5
	v_cmp_gt_u32_e64 s6, 12, v5
	v_add_nc_u32_e32 v1, 63, v1
	v_add_co_ci_u32_e64 v3, null, 0, v4, vcc_lo
	v_cmp_gt_u32_e32 vcc_lo, 14, v5
	s_delay_alu instid0(VALU_DEP_4) | instskip(NEXT) | instid1(VALU_DEP_3)
	v_cndmask_b32_e64 v22, 0, 4, s6
	v_lshlrev_b32_e32 v3, 2, v3
	v_cndmask_b32_e64 v21, 0, 2, vcc_lo
	s_delay_alu instid0(VALU_DEP_1)
	v_add_lshl_u32 v21, v21, v4, 2
	s_wait_dscnt 0x0
	ds_bpermute_b32 v3, v3, v2
	s_wait_dscnt 0x0
	v_dual_add_f32 v3, v2, v3 :: v_dual_add_nc_u32 v20, 1, v5
	v_lshrrev_b32_e32 v1, 6, v1
	s_delay_alu instid0(VALU_DEP_1) | instskip(NEXT) | instid1(VALU_DEP_3)
	v_cmp_lt_u32_e32 vcc_lo, v20, v1
	v_cndmask_b32_e32 v3, v2, v3, vcc_lo
	ds_bpermute_b32 v20, v21, v3
	s_wait_dscnt 0x0
	v_dual_add_f32 v20, v3, v20 :: v_dual_add_nc_u32 v21, 2, v5
	s_delay_alu instid0(VALU_DEP_1) | instskip(NEXT) | instid1(VALU_DEP_1)
	v_cmp_lt_u32_e64 s6, v21, v1
	v_dual_add_nc_u32 v21, 4, v5 :: v_dual_cndmask_b32 v3, v3, v20, s6
	v_add_lshl_u32 v20, v22, v4, 2
	s_delay_alu instid0(VALU_DEP_2) | instskip(SKIP_4) | instid1(VALU_DEP_1)
	v_cmp_lt_u32_e64 s6, v21, v1
	v_add_nc_u32_e32 v21, 8, v5
	ds_bpermute_b32 v20, v20, v3
	s_wait_dscnt 0x0
	v_add_f32_e32 v20, v3, v20
	v_cndmask_b32_e64 v3, v3, v20, s6
	v_cmp_lt_u32_e64 s6, v21, v1
	ds_bpermute_b32 v20, v6, v3
	s_wait_dscnt 0x0
	v_add_f32_e32 v20, v3, v20
	s_delay_alu instid0(VALU_DEP_1) | instskip(NEXT) | instid1(VALU_DEP_1)
	v_cndmask_b32_e64 v1, v3, v20, s6
	v_cndmask_b32_e32 v2, v2, v1, vcc_lo
.LBB10_11:
	s_or_b32 exec_lo, exec_lo, s7
	v_cmp_eq_u32_e64 s6, 0, v0
	s_mov_b32 s25, 0
	s_and_saveexec_b32 s7, s6
	s_cbranch_execz .LBB10_13
; %bb.12:
	s_cvt_f32_i32 s8, s23
	s_delay_alu instid0(SALU_CYCLE_3) | instskip(SKIP_1) | instid1(VALU_DEP_2)
	v_div_scale_f32 v1, null, s8, s8, v2
	v_div_scale_f32 v21, vcc_lo, v2, s8, v2
	v_rcp_f32_e32 v3, v1
	v_nop
	s_delay_alu instid0(TRANS32_DEP_1) | instskip(NEXT) | instid1(VALU_DEP_1)
	v_fma_f32 v20, -v1, v3, 1.0
	v_fmac_f32_e32 v3, v20, v3
	s_delay_alu instid0(VALU_DEP_1) | instskip(NEXT) | instid1(VALU_DEP_1)
	v_mul_f32_e32 v20, v21, v3
	v_fma_f32 v22, -v1, v20, v21
	s_delay_alu instid0(VALU_DEP_1) | instskip(NEXT) | instid1(VALU_DEP_1)
	v_fmac_f32_e32 v20, v22, v3
	v_fma_f32 v1, -v1, v20, v21
	s_delay_alu instid0(VALU_DEP_1) | instskip(NEXT) | instid1(VALU_DEP_1)
	v_div_fmas_f32 v1, v1, v3, v20
	v_div_fixup_f32 v1, v1, s8, v2
	s_delay_alu instid0(VALU_DEP_1) | instskip(NEXT) | instid1(VALU_DEP_1)
	v_add_f32_e32 v1, s22, v1
	v_mul_f32_e32 v2, 0x4b800000, v1
	v_cmp_gt_f32_e32 vcc_lo, 0x800000, v1
	s_delay_alu instid0(VALU_DEP_2) | instskip(NEXT) | instid1(VALU_DEP_1)
	v_cndmask_b32_e32 v1, v1, v2, vcc_lo
	v_rsq_f32_e32 v1, v1
	v_nop
	s_delay_alu instid0(TRANS32_DEP_1) | instskip(NEXT) | instid1(VALU_DEP_1)
	v_mul_f32_e32 v2, 0x45800000, v1
	v_dual_cndmask_b32 v1, v1, v2 :: v_dual_mov_b32 v2, 0
	ds_store_b32 v2, v1 offset:264
.LBB10_13:
	s_or_b32 exec_lo, exec_lo, s7
	v_mov_b32_e32 v20, 0
	s_wait_dscnt 0x0
	s_barrier_signal -1
	s_barrier_wait -1
	ds_load_b32 v1, v20 offset:264
                                        ; implicit-def: $sgpr8_sgpr9
	s_and_saveexec_b32 s7, s3
	s_delay_alu instid0(SALU_CYCLE_1)
	s_xor_b32 s3, exec_lo, s7
; %bb.14:
	s_add_nc_u64 s[8:9], s[0:1], 56
; %bb.15:
	s_or_saveexec_b32 s3, s3
	v_mov_b64_e32 v[2:3], s[8:9]
	s_xor_b32 exec_lo, exec_lo, s3
	s_cbranch_execz .LBB10_19
; %bb.16:
	s_load_b32 s7, s[0:1], 0x44
	s_ashr_i32 s11, s23, 31
	s_mov_b32 s10, s23
	v_dual_mov_b32 v20, 0 :: v_dual_mov_b32 v2, v0
	s_mul_u64 s[10:11], s[10:11], s[24:25]
	s_add_nc_u64 s[8:9], s[0:1], 56
	s_lshl_b64 s[10:11], s[10:11], 1
	s_delay_alu instid0(SALU_CYCLE_1)
	s_add_nc_u64 s[10:11], s[16:17], s[10:11]
	s_wait_kmcnt 0x0
	s_and_b32 s27, s7, 0xffff
	s_mov_b32 s7, 0
.LBB10_17:                              ; =>This Inner Loop Header: Depth=1
	s_clause 0x1
	global_load_u16 v3, v2, s[10:11] scale_offset
	global_load_u16 v21, v2, s[18:19] scale_offset
	s_wait_xcnt 0x0
	v_dual_add_nc_u32 v2, s27, v2 :: v_dual_max_num_f32 v20, v20, v20
	s_delay_alu instid0(VALU_DEP_1) | instskip(SKIP_4) | instid1(VALU_DEP_1)
	v_cmp_le_u32_e32 vcc_lo, s23, v2
	s_or_b32 s7, vcc_lo, s7
	s_wait_loadcnt_dscnt 0x100
	v_fma_mixlo_f16 v3, v1, v3, 0 op_sel_hi:[0,1,0]
	s_wait_loadcnt 0x0
	v_mul_f16_e32 v3, v21, v3
	s_delay_alu instid0(VALU_DEP_1) | instskip(NEXT) | instid1(VALU_DEP_1)
	v_cvt_f32_f16_e64 v3, |v3|
	v_max_num_f32_e32 v20, v20, v3
	s_and_not1_b32 exec_lo, exec_lo, s7
	s_cbranch_execnz .LBB10_17
; %bb.18:
	s_or_b32 exec_lo, exec_lo, s7
	v_mov_b64_e32 v[2:3], s[8:9]
.LBB10_19:
	s_or_b32 exec_lo, exec_lo, s3
	global_load_b32 v22, v[2:3], off
	v_mov_b32_e32 v23, 0
	v_or_b32_e32 v21, 0x80, v7
	s_wait_loadcnt 0x0
	v_cmp_lt_u32_e32 vcc_lo, s24, v22
	v_cndmask_b32_e64 v22, 18, 12, vcc_lo
	s_delay_alu instid0(VALU_DEP_1)
	v_add_nc_u64_e32 v[2:3], v[2:3], v[22:23]
	global_load_u16 v2, v[2:3], off
	s_wait_xcnt 0x0
	ds_bpermute_b32 v3, v9, v20
	s_wait_dscnt 0x0
	v_cmp_lt_f32_e32 vcc_lo, v20, v3
	v_cndmask_b32_e32 v3, v20, v3, vcc_lo
	s_wait_loadcnt 0x0
	v_sub_nc_u32_e64 v9, v2, v10 clamp
	s_delay_alu instid0(VALU_DEP_1)
	v_cmp_lt_u32_e32 vcc_lo, v8, v9
	v_cmp_lt_u32_e64 s10, v19, v9
	v_cndmask_b32_e32 v3, v20, v3, vcc_lo
	ds_bpermute_b32 v8, v11, v3
	s_wait_dscnt 0x0
	v_cmp_lt_f32_e64 s3, v3, v8
	s_delay_alu instid0(VALU_DEP_1) | instskip(SKIP_1) | instid1(VALU_DEP_1)
	v_cndmask_b32_e64 v8, v3, v8, s3
	v_cmp_lt_u32_e64 s3, v13, v9
	v_cndmask_b32_e64 v3, v3, v8, s3
	s_or_b32 s3, vcc_lo, s3
	ds_bpermute_b32 v8, v12, v3
	s_wait_dscnt 0x0
	v_cmp_lt_f32_e64 s7, v3, v8
	s_delay_alu instid0(VALU_DEP_1) | instskip(SKIP_1) | instid1(VALU_DEP_1)
	v_cndmask_b32_e64 v8, v3, v8, s7
	v_cmp_lt_u32_e64 s7, v15, v9
	v_cndmask_b32_e64 v3, v3, v8, s7
	s_or_b32 s3, s7, s3
	ds_bpermute_b32 v8, v14, v3
	s_wait_dscnt 0x0
	v_cmp_lt_f32_e64 s8, v3, v8
	s_delay_alu instid0(VALU_DEP_1) | instskip(SKIP_1) | instid1(VALU_DEP_1)
	v_cndmask_b32_e64 v8, v3, v8, s8
	v_cmp_lt_u32_e64 s8, v18, v9
	v_cndmask_b32_e64 v3, v3, v8, s8
	s_or_b32 s3, s8, s3
	;; [unrolled: 8-line block ×3, first 2 shown]
	ds_bpermute_b32 v8, v21, v3
	s_wait_dscnt 0x0
	v_cmp_lt_f32_e32 vcc_lo, v3, v8
	s_and_b32 vcc_lo, s10, vcc_lo
	v_cndmask_b32_e32 v3, v3, v8, vcc_lo
	s_or_b32 vcc_lo, s10, s3
	s_delay_alu instid0(VALU_DEP_1)
	v_cndmask_b32_e32 v3, v20, v3, vcc_lo
	s_and_saveexec_b32 s3, s4
; %bb.20:
	v_lshrrev_b32_e32 v8, 4, v0
	s_delay_alu instid0(VALU_DEP_1)
	v_and_b32_e32 v8, 60, v8
	ds_store_b32 v8, v3 offset:192
; %bb.21:
	s_or_b32 exec_lo, exec_lo, s3
	s_wait_dscnt 0x0
	s_barrier_signal -1
	s_barrier_wait -1
	s_and_saveexec_b32 s7, s5
	s_cbranch_execz .LBB10_23
; %bb.22:
	ds_load_b32 v3, v7 offset:192
	v_cmp_ne_u32_e32 vcc_lo, 15, v5
	v_cmp_gt_u32_e64 s3, 12, v5
	v_dual_add_nc_u32 v2, 63, v2 :: v_dual_add_nc_u32 v8, 1, v5
	v_add_co_ci_u32_e64 v7, null, 0, v4, vcc_lo
	v_cmp_gt_u32_e32 vcc_lo, 14, v5
	s_delay_alu instid0(VALU_DEP_4) | instskip(NEXT) | instid1(VALU_DEP_3)
	v_cndmask_b32_e64 v10, 0, 4, s3
	v_dual_lshrrev_b32 v2, 6, v2 :: v_dual_lshlrev_b32 v7, 2, v7
	v_cndmask_b32_e64 v9, 0, 2, vcc_lo
	s_delay_alu instid0(VALU_DEP_1) | instskip(NEXT) | instid1(VALU_DEP_4)
	v_add_lshl_u32 v9, v9, v4, 2
	v_add_lshl_u32 v4, v10, v4, 2
	s_wait_dscnt 0x0
	ds_bpermute_b32 v7, v7, v3
	s_wait_dscnt 0x0
	v_cmp_lt_f32_e32 vcc_lo, v3, v7
	v_cndmask_b32_e32 v7, v3, v7, vcc_lo
	v_cmp_lt_u32_e32 vcc_lo, v8, v2
	s_delay_alu instid0(VALU_DEP_2) | instskip(SKIP_4) | instid1(VALU_DEP_1)
	v_cndmask_b32_e32 v7, v3, v7, vcc_lo
	ds_bpermute_b32 v8, v9, v7
	v_add_nc_u32_e32 v9, 2, v5
	s_wait_dscnt 0x0
	v_cmp_lt_f32_e64 s3, v7, v8
	v_cndmask_b32_e64 v8, v7, v8, s3
	s_delay_alu instid0(VALU_DEP_3) | instskip(NEXT) | instid1(VALU_DEP_1)
	v_cmp_lt_u32_e64 s3, v9, v2
	v_dual_cndmask_b32 v7, v7, v8, s3 :: v_dual_add_nc_u32 v8, 4, v5
	v_add_nc_u32_e32 v5, 8, v5
	ds_bpermute_b32 v4, v4, v7
	s_wait_dscnt 0x0
	v_cmp_lt_f32_e64 s3, v7, v4
	s_delay_alu instid0(VALU_DEP_1) | instskip(SKIP_1) | instid1(VALU_DEP_1)
	v_cndmask_b32_e64 v4, v7, v4, s3
	v_cmp_lt_u32_e64 s3, v8, v2
	v_cndmask_b32_e64 v4, v7, v4, s3
	v_cmp_lt_u32_e64 s3, v5, v2
	ds_bpermute_b32 v6, v6, v4
	s_wait_dscnt 0x0
	v_cmp_lt_f32_e64 s4, v4, v6
	s_and_b32 s3, s3, s4
	s_delay_alu instid0(SALU_CYCLE_1) | instskip(NEXT) | instid1(VALU_DEP_1)
	v_cndmask_b32_e64 v2, v4, v6, s3
	v_cndmask_b32_e32 v3, v3, v2, vcc_lo
.LBB10_23:
	s_or_b32 exec_lo, exec_lo, s7
	s_and_saveexec_b32 s3, s6
	s_cbranch_execz .LBB10_27
; %bb.24:
	s_cmp_eq_u64 s[20:21], 0
	s_cbranch_scc1 .LBB10_26
; %bb.25:
	s_load_b32 s4, s[20:21], 0x0
	v_max_num_f32_e32 v2, v3, v3
	s_wait_kmcnt 0x0
	v_max_num_f32_e64 v3, s4, s4
	s_delay_alu instid0(VALU_DEP_1)
	v_min_num_f32_e32 v3, v2, v3
.LBB10_26:
	s_delay_alu instid0(VALU_DEP_1)
	v_div_scale_f32 v2, null, 0x43600000, 0x43600000, v3
	v_div_scale_f32 v6, vcc_lo, v3, 0x43600000, v3
	s_lshl_b64 s[4:5], s[24:25], 2
	v_rcp_f32_e32 v4, v2
	s_add_nc_u64 s[4:5], s[14:15], s[4:5]
	v_nop
	s_delay_alu instid0(TRANS32_DEP_1) | instskip(NEXT) | instid1(VALU_DEP_1)
	v_fma_f32 v5, -v2, v4, 1.0
	v_fmac_f32_e32 v4, v5, v4
	s_delay_alu instid0(VALU_DEP_1) | instskip(NEXT) | instid1(VALU_DEP_1)
	v_mul_f32_e32 v5, v6, v4
	v_fma_f32 v7, -v2, v5, v6
	s_delay_alu instid0(VALU_DEP_1) | instskip(NEXT) | instid1(VALU_DEP_1)
	v_fmac_f32_e32 v5, v7, v4
	v_fma_f32 v2, -v2, v5, v6
	s_delay_alu instid0(VALU_DEP_1) | instskip(NEXT) | instid1(VALU_DEP_1)
	v_div_fmas_f32 v2, v2, v4, v5
	v_div_fixup_f32 v2, v2, 0x43600000, v3
	s_delay_alu instid0(VALU_DEP_1)
	v_dual_mov_b32 v3, 0 :: v_dual_max_num_f32 v2, 0x37124925, v2
	ds_store_b32 v3, v2 offset:268
	global_store_b32 v3, v2, s[4:5]
.LBB10_27:
	s_wait_xcnt 0x0
	s_or_b32 exec_lo, exec_lo, s3
	s_wait_storecnt_dscnt 0x0
	s_barrier_signal -1
	s_barrier_wait -1
	s_and_saveexec_b32 s4, s2
	s_cbranch_execz .LBB10_38
; %bb.28:
	v_dual_mov_b32 v3, 0 :: v_dual_mov_b32 v2, v0
	s_load_b32 s5, s[0:1], 0x44
	s_ashr_i32 s3, s23, 31
	s_mov_b32 s2, s23
	ds_load_b32 v6, v3 offset:268
	s_mul_u64 s[2:3], s[2:3], s[24:25]
	s_mov_b32 s6, 0
	s_mov_b32 s7, 0x43600000
	s_wait_kmcnt 0x0
	s_and_b32 s5, s5, 0xffff
	s_branch .LBB10_31
.LBB10_29:                              ;   in Loop: Header=BB10_31 Depth=1
	s_or_b32 exec_lo, exec_lo, s10
.LBB10_30:                              ;   in Loop: Header=BB10_31 Depth=1
	s_delay_alu instid0(SALU_CYCLE_1) | instskip(SKIP_2) | instid1(VALU_DEP_2)
	s_or_b32 exec_lo, exec_lo, s8
	v_add_nc_u32_e32 v2, s5, v2
	v_add_nc_u64_e32 v[4:5], s[12:13], v[4:5]
	v_cmp_le_u32_e32 vcc_lo, s23, v2
	global_store_b8 v[4:5], v9, off
	s_or_b32 s6, vcc_lo, s6
	s_wait_xcnt 0x0
	s_and_not1_b32 exec_lo, exec_lo, s6
	s_cbranch_execz .LBB10_38
.LBB10_31:                              ; =>This Inner Loop Header: Depth=1
	v_add_nc_u64_e32 v[4:5], s[2:3], v[2:3]
	s_mov_b32 s8, exec_lo
	s_delay_alu instid0(VALU_DEP_1)
	v_lshl_add_u64 v[8:9], v[4:5], 1, s[16:17]
	global_load_u16 v7, v[8:9], off
	global_load_u16 v10, v2, s[18:19] scale_offset
	s_wait_loadcnt 0x1
	v_fma_mixlo_f16 v7, v1, v7, 0 op_sel_hi:[0,1,0]
	s_wait_loadcnt 0x0
	s_delay_alu instid0(VALU_DEP_1) | instskip(NEXT) | instid1(VALU_DEP_1)
	v_mul_f16_e32 v7, v10, v7
	v_cvt_f32_f16_e32 v7, v7
	s_wait_dscnt 0x0
	s_wait_xcnt 0x1
	s_delay_alu instid0(VALU_DEP_1) | instskip(SKIP_1) | instid1(VALU_DEP_2)
	v_div_scale_f32 v8, null, v6, v6, v7
	v_div_scale_f32 v11, vcc_lo, v7, v6, v7
	v_rcp_f32_e32 v9, v8
	v_nop
	s_delay_alu instid0(TRANS32_DEP_1) | instskip(NEXT) | instid1(VALU_DEP_1)
	v_fma_f32 v10, -v8, v9, 1.0
	v_fmac_f32_e32 v9, v10, v9
	s_delay_alu instid0(VALU_DEP_1) | instskip(NEXT) | instid1(VALU_DEP_1)
	v_mul_f32_e32 v10, v11, v9
	v_fma_f32 v12, -v8, v10, v11
	s_delay_alu instid0(VALU_DEP_1) | instskip(NEXT) | instid1(VALU_DEP_1)
	v_fmac_f32_e32 v10, v12, v9
	v_fma_f32 v8, -v8, v10, v11
	s_delay_alu instid0(VALU_DEP_1) | instskip(SKIP_1) | instid1(VALU_DEP_2)
	v_div_fmas_f32 v8, v8, v9, v10
	v_mov_b32_e32 v9, 0x80
	v_div_fixup_f32 v7, v8, v6, v7
	s_delay_alu instid0(VALU_DEP_1) | instskip(NEXT) | instid1(VALU_DEP_1)
	v_minmax_num_f32 v7, v7, s7, 0xc3600000
	v_and_b32_e32 v8, 0x7fffffff, v7
	s_wait_xcnt 0x0
	s_delay_alu instid0(VALU_DEP_1)
	v_cmpx_gt_u32_e32 0x43800000, v8
	s_cbranch_execz .LBB10_30
; %bb.32:                               ;   in Loop: Header=BB10_31 Depth=1
	v_cmp_lt_u32_e32 vcc_lo, 0x3bffffff, v8
	s_mov_b32 s9, 0
                                        ; implicit-def: $vgpr8
	s_and_saveexec_b32 s10, vcc_lo
	s_delay_alu instid0(SALU_CYCLE_1)
	s_xor_b32 s10, exec_lo, s10
	s_cbranch_execnz .LBB10_35
; %bb.33:                               ;   in Loop: Header=BB10_31 Depth=1
	s_and_not1_saveexec_b32 s10, s10
	s_cbranch_execnz .LBB10_36
.LBB10_34:                              ;   in Loop: Header=BB10_31 Depth=1
	s_or_b32 exec_lo, exec_lo, s10
	v_mov_b32_e32 v9, 0
	s_and_saveexec_b32 s10, s9
	s_cbranch_execz .LBB10_29
	s_branch .LBB10_37
.LBB10_35:                              ;   in Loop: Header=BB10_31 Depth=1
	v_bfe_u32 v8, v7, 20, 1
	s_mov_b32 s9, exec_lo
	s_delay_alu instid0(VALU_DEP_1) | instskip(NEXT) | instid1(VALU_DEP_1)
	v_add3_u32 v8, v7, v8, 0x487ffff
	v_lshrrev_b32_e32 v8, 20, v8
	s_and_not1_saveexec_b32 s10, s10
	s_cbranch_execz .LBB10_34
.LBB10_36:                              ;   in Loop: Header=BB10_31 Depth=1
	v_add_f32_e64 v8, 0x46000000, |v7|
	s_and_not1_b32 s9, s9, exec_lo
	s_delay_alu instid0(VALU_DEP_1) | instskip(NEXT) | instid1(VALU_DEP_1)
	v_and_b32_e32 v8, 0xff, v8
	v_cmp_ne_u32_e32 vcc_lo, 0, v8
	s_and_b32 s11, vcc_lo, exec_lo
	s_delay_alu instid0(SALU_CYCLE_1)
	s_or_b32 s9, s9, s11
	s_or_b32 exec_lo, exec_lo, s10
	v_mov_b32_e32 v9, 0
	s_and_saveexec_b32 s10, s9
	s_cbranch_execz .LBB10_29
.LBB10_37:                              ;   in Loop: Header=BB10_31 Depth=1
	v_lshrrev_b32_e32 v7, 24, v7
	s_delay_alu instid0(VALU_DEP_1)
	v_and_or_b32 v9, 0x80, v7, v8
	s_branch .LBB10_29
.LBB10_38:
	s_or_b32 exec_lo, exec_lo, s4
	s_branch .LBB10_211
.LBB10_39:
	s_cbranch_execz .LBB10_211
; %bb.40:
	s_load_b32 s3, s[0:1], 0x38
	s_bfe_u32 s2, ttmp6, 0x4000c
	s_and_b32 s4, ttmp6, 15
	s_add_co_i32 s2, s2, 1
	s_mov_b32 s27, 0
	s_mul_i32 s2, ttmp9, s2
	v_mov_b32_e32 v2, 0
	s_add_co_i32 s4, s4, s2
	s_cmp_eq_u32 s26, 0
	s_wait_xcnt 0x0
	s_add_nc_u64 s[0:1], s[0:1], 56
	s_cselect_b32 s26, ttmp9, s4
	s_ashr_i32 s5, s23, 31
	s_mov_b32 s4, s23
	s_ashr_i32 s28, s23, 2
	s_mul_u64 s[24:25], s[4:5], s[26:27]
	v_cmp_gt_u32_e64 s2, s28, v0
	s_lshl_b64 s[4:5], s[24:25], 1
	s_delay_alu instid0(SALU_CYCLE_1)
	s_add_nc_u64 s[10:11], s[16:17], s[4:5]
	s_and_saveexec_b32 s4, s2
	s_cbranch_execz .LBB10_50
; %bb.41:
	s_wait_kmcnt 0x0
	s_cmp_lt_u32 s26, s3
	s_mov_b32 s7, s27
	s_cselect_b32 s6, 12, 18
	v_dual_mov_b32 v2, 0 :: v_dual_mov_b32 v1, v0
	s_add_nc_u64 s[6:7], s[0:1], s[6:7]
	s_mov_b32 s8, s27
	s_load_u16 s5, s[6:7], 0x0
                                        ; implicit-def: $sgpr16
	s_wait_kmcnt 0x0
	s_lshl_b32 s6, s5, 1
	s_mul_i32 s7, s5, 3
	s_add_co_i32 s9, s5, s5
	s_branch .LBB10_45
.LBB10_42:                              ;   in Loop: Header=BB10_45 Depth=1
	s_or_b32 exec_lo, exec_lo, s30
	s_delay_alu instid0(SALU_CYCLE_1)
	s_or_not1_b32 s30, s31, exec_lo
.LBB10_43:                              ;   in Loop: Header=BB10_45 Depth=1
	s_or_b32 exec_lo, exec_lo, s29
	s_delay_alu instid0(SALU_CYCLE_1) | instskip(SKIP_1) | instid1(SALU_CYCLE_1)
	s_and_not1_b32 s16, s16, exec_lo
	s_and_b32 s29, s30, exec_lo
	s_or_b32 s16, s16, s29
.LBB10_44:                              ;   in Loop: Header=BB10_45 Depth=1
	s_or_b32 exec_lo, exec_lo, s17
	s_delay_alu instid0(SALU_CYCLE_1) | instskip(NEXT) | instid1(SALU_CYCLE_1)
	s_and_b32 s17, exec_lo, s16
	s_or_b32 s8, s17, s8
	s_delay_alu instid0(SALU_CYCLE_1)
	s_and_not1_b32 exec_lo, exec_lo, s8
	s_cbranch_execz .LBB10_49
.LBB10_45:                              ; =>This Inner Loop Header: Depth=1
	global_load_b64 v[4:5], v1, s[10:11] scale_offset
	s_or_b32 s16, s16, exec_lo
	s_mov_b32 s17, exec_lo
	s_wait_loadcnt 0x0
	v_lshrrev_b32_e32 v3, 16, v4
	v_cvt_f32_f16_e32 v6, v4
	v_cvt_f32_f16_e32 v4, v5
	s_delay_alu instid0(VALU_DEP_3) | instskip(NEXT) | instid1(VALU_DEP_1)
	v_cvt_f32_f16_e32 v7, v3
	v_pk_mul_f32 v[6:7], v[6:7], v[6:7]
	s_delay_alu instid0(VALU_DEP_1) | instskip(NEXT) | instid1(VALU_DEP_1)
	v_dual_add_f32 v2, v2, v6 :: v_dual_lshrrev_b32 v3, 16, v5
	v_add_f32_e32 v2, v2, v7
	s_delay_alu instid0(VALU_DEP_2) | instskip(SKIP_1) | instid1(VALU_DEP_2)
	v_cvt_f32_f16_e32 v5, v3
	v_add_nc_u32_e32 v3, s5, v1
	v_pk_mul_f32 v[4:5], v[4:5], v[4:5]
	s_delay_alu instid0(VALU_DEP_1) | instskip(NEXT) | instid1(VALU_DEP_1)
	v_add_f32_e32 v2, v2, v4
	v_add_f32_e32 v2, v2, v5
	s_wait_xcnt 0x0
	v_cmpx_gt_u32_e64 s28, v3
	s_cbranch_execz .LBB10_44
; %bb.46:                               ;   in Loop: Header=BB10_45 Depth=1
	global_load_b64 v[4:5], v3, s[10:11] scale_offset
	s_mov_b32 s30, -1
	s_mov_b32 s29, exec_lo
	s_wait_loadcnt 0x0
	v_dual_lshrrev_b32 v7, 16, v4 :: v_dual_lshrrev_b32 v8, 16, v5
	v_cvt_f32_f16_e32 v6, v4
	v_cvt_f32_f16_e32 v4, v5
	s_delay_alu instid0(VALU_DEP_3) | instskip(NEXT) | instid1(VALU_DEP_4)
	v_cvt_f32_f16_e32 v7, v7
	v_cvt_f32_f16_e32 v5, v8
	s_delay_alu instid0(VALU_DEP_2) | instskip(NEXT) | instid1(VALU_DEP_2)
	v_pk_mul_f32 v[6:7], v[6:7], v[6:7]
	v_pk_mul_f32 v[4:5], v[4:5], v[4:5]
	s_delay_alu instid0(VALU_DEP_2) | instskip(NEXT) | instid1(VALU_DEP_1)
	v_add_f32_e32 v2, v2, v6
	v_add_f32_e32 v2, v2, v7
	s_delay_alu instid0(VALU_DEP_1) | instskip(NEXT) | instid1(VALU_DEP_1)
	v_dual_add_f32 v2, v2, v4 :: v_dual_add_nc_u32 v4, s6, v1
	v_add_f32_e32 v2, v2, v5
	s_wait_xcnt 0x0
	s_delay_alu instid0(VALU_DEP_2)
	v_cmpx_gt_u32_e64 s28, v4
	s_cbranch_execz .LBB10_43
; %bb.47:                               ;   in Loop: Header=BB10_45 Depth=1
	global_load_b64 v[4:5], v4, s[10:11] scale_offset
	s_mov_b32 s31, -1
	s_mov_b32 s30, exec_lo
	s_wait_loadcnt 0x0
	v_dual_lshrrev_b32 v7, 16, v4 :: v_dual_lshrrev_b32 v8, 16, v5
	v_cvt_f32_f16_e32 v6, v4
	s_wait_xcnt 0x0
	v_cvt_f32_f16_e32 v4, v5
	s_delay_alu instid0(VALU_DEP_3) | instskip(SKIP_1) | instid1(VALU_DEP_2)
	v_cvt_f32_f16_e32 v7, v7
	v_cvt_f32_f16_e32 v5, v8
	v_pk_mul_f32 v[6:7], v[6:7], v[6:7]
	s_delay_alu instid0(VALU_DEP_2) | instskip(NEXT) | instid1(VALU_DEP_2)
	v_pk_mul_f32 v[4:5], v[4:5], v[4:5]
	v_add_f32_e32 v2, v2, v6
	s_delay_alu instid0(VALU_DEP_1) | instskip(NEXT) | instid1(VALU_DEP_1)
	v_add_f32_e32 v2, v2, v7
	v_dual_add_f32 v2, v2, v4 :: v_dual_add_nc_u32 v4, s7, v1
                                        ; implicit-def: $vgpr1
	s_delay_alu instid0(VALU_DEP_1) | instskip(NEXT) | instid1(VALU_DEP_2)
	v_add_f32_e32 v2, v2, v5
	v_cmpx_gt_u32_e64 s28, v4
	s_xor_b32 s30, exec_lo, s30
	s_cbranch_execz .LBB10_42
; %bb.48:                               ;   in Loop: Header=BB10_45 Depth=1
	global_load_b64 v[4:5], v4, s[10:11] scale_offset
	s_wait_loadcnt 0x0
	v_lshrrev_b32_e32 v1, 16, v4
	v_cvt_f32_f16_e32 v6, v4
	s_wait_xcnt 0x0
	v_cvt_f32_f16_e32 v4, v5
	s_delay_alu instid0(VALU_DEP_3) | instskip(NEXT) | instid1(VALU_DEP_1)
	v_cvt_f32_f16_e32 v7, v1
	v_pk_mul_f32 v[6:7], v[6:7], v[6:7]
	s_delay_alu instid0(VALU_DEP_1) | instskip(NEXT) | instid1(VALU_DEP_1)
	v_dual_add_f32 v2, v2, v6 :: v_dual_lshrrev_b32 v1, 16, v5
	v_add_f32_e32 v2, v2, v7
	s_delay_alu instid0(VALU_DEP_2) | instskip(SKIP_1) | instid1(VALU_DEP_2)
	v_cvt_f32_f16_e32 v5, v1
	v_add3_u32 v1, s9, s5, v3
	v_pk_mul_f32 v[4:5], v[4:5], v[4:5]
	s_delay_alu instid0(VALU_DEP_2) | instskip(NEXT) | instid1(VALU_DEP_2)
	v_cmp_le_u32_e32 vcc_lo, s28, v1
	v_add_f32_e32 v2, v2, v4
	s_or_not1_b32 s31, vcc_lo, exec_lo
	s_delay_alu instid0(VALU_DEP_1)
	v_add_f32_e32 v2, v2, v5
	s_branch .LBB10_42
.LBB10_49:
	s_or_b32 exec_lo, exec_lo, s8
.LBB10_50:
	s_delay_alu instid0(SALU_CYCLE_1)
	s_or_b32 exec_lo, exec_lo, s4
	v_mbcnt_lo_u32_b32 v1, -1, 0
	s_wait_kmcnt 0x0
	s_cmp_lt_u32 s26, s3
	s_mov_b32 s5, 0
	s_cselect_b32 s4, 12, 18
	v_and_b32_e32 v5, 0x3c0, v0
	v_cmp_ne_u32_e32 vcc_lo, 63, v1
	s_add_nc_u64 s[0:1], s[0:1], s[4:5]
	v_cmp_eq_u32_e64 s6, 0, v1
	s_load_u16 s16, s[0:1], 0x0
	v_add_nc_u32_e32 v6, 1, v1
	v_add_co_ci_u32_e64 v3, null, 0, v1, vcc_lo
	v_cmp_gt_u32_e32 vcc_lo, 62, v1
	s_delay_alu instid0(VALU_DEP_2)
	v_lshlrev_b32_e32 v3, 2, v3
	v_cndmask_b32_e64 v7, 0, 2, vcc_lo
	v_cmp_gt_u32_e32 vcc_lo, 60, v1
	ds_bpermute_b32 v4, v3, v2
	s_wait_kmcnt 0x0
	v_sub_nc_u32_e64 v8, s16, v5 clamp
	s_delay_alu instid0(VALU_DEP_1)
	v_cmp_lt_u32_e64 s0, v6, v8
	v_cndmask_b32_e64 v6, 0, 4, vcc_lo
	v_cmp_gt_u32_e32 vcc_lo, 56, v1
	s_wait_dscnt 0x0
	v_add_f32_e32 v5, v2, v4
	v_add_lshl_u32 v4, v7, v1, 2
	v_add_nc_u32_e32 v7, 2, v1
	s_delay_alu instid0(VALU_DEP_3) | instskip(NEXT) | instid1(VALU_DEP_2)
	v_cndmask_b32_e64 v2, v2, v5, s0
	v_cmp_lt_u32_e64 s1, v7, v8
	v_cndmask_b32_e64 v7, 0, 8, vcc_lo
	v_cmp_gt_u32_e32 vcc_lo, 48, v1
	ds_bpermute_b32 v5, v4, v2
	s_wait_dscnt 0x0
	v_add_f32_e32 v9, v2, v5
	v_add_lshl_u32 v5, v6, v1, 2
	s_delay_alu instid0(VALU_DEP_2) | instskip(SKIP_4) | instid1(VALU_DEP_2)
	v_cndmask_b32_e64 v2, v2, v9, s1
	ds_bpermute_b32 v6, v5, v2
	s_wait_dscnt 0x0
	v_dual_add_f32 v10, v2, v6 :: v_dual_add_nc_u32 v9, 4, v1
	v_add_lshl_u32 v6, v7, v1, 2
	v_cmp_lt_u32_e64 s3, v9, v8
	v_cndmask_b32_e64 v9, 0, 16, vcc_lo
	s_delay_alu instid0(VALU_DEP_2) | instskip(SKIP_3) | instid1(VALU_DEP_1)
	v_cndmask_b32_e64 v2, v2, v10, s3
	ds_bpermute_b32 v7, v6, v2
	s_wait_dscnt 0x0
	v_dual_add_f32 v11, v2, v7 :: v_dual_add_nc_u32 v10, 8, v1
	v_cmp_lt_u32_e64 s4, v10, v8
	v_add_lshl_u32 v7, v9, v1, 2
	s_delay_alu instid0(VALU_DEP_2) | instskip(NEXT) | instid1(VALU_DEP_1)
	v_dual_add_nc_u32 v10, 16, v1 :: v_dual_cndmask_b32 v9, v2, v11, s4
	v_cmp_lt_u32_e64 s5, v10, v8
	ds_bpermute_b32 v2, v7, v9
	s_wait_dscnt 0x0
	v_dual_add_f32 v11, v9, v2 :: v_dual_lshlrev_b32 v2, 2, v1
	s_delay_alu instid0(VALU_DEP_1) | instskip(SKIP_3) | instid1(VALU_DEP_1)
	v_cndmask_b32_e64 v9, v9, v11, s5
	ds_bpermute_b32 v10, v2, v9 offset:128
	s_wait_dscnt 0x0
	v_dual_add_f32 v10, v9, v10 :: v_dual_bitop2_b32 v11, 32, v1 bitop3:0x54
	v_cmp_lt_u32_e64 s8, v11, v8
	s_delay_alu instid0(VALU_DEP_1)
	v_cndmask_b32_e64 v8, v9, v10, s8
	s_and_saveexec_b32 s7, s6
; %bb.51:
	v_lshrrev_b32_e32 v9, 4, v0
	s_delay_alu instid0(VALU_DEP_1)
	v_and_b32_e32 v9, 60, v9
	ds_store_b32 v9, v8
; %bb.52:
	s_or_b32 exec_lo, exec_lo, s7
	v_cmp_gt_u32_e64 s7, 16, v0
	s_wait_storecnt_dscnt 0x0
	s_barrier_signal -1
	s_barrier_wait -1
	s_and_saveexec_b32 s17, s7
	s_cbranch_execz .LBB10_54
; %bb.53:
	ds_load_b32 v8, v2
	v_and_b32_e32 v9, 15, v1
	s_add_co_i32 s9, s16, 63
	s_delay_alu instid0(SALU_CYCLE_1) | instskip(NEXT) | instid1(VALU_DEP_1)
	s_lshr_b32 s29, s9, 6
	v_cmp_ne_u32_e32 vcc_lo, 15, v9
	v_add_co_ci_u32_e64 v10, null, 0, v1, vcc_lo
	s_delay_alu instid0(VALU_DEP_1)
	v_lshlrev_b32_e32 v10, 2, v10
	v_cmp_gt_u32_e32 vcc_lo, 14, v9
	v_cmp_gt_u32_e64 s9, 12, v9
	v_add_nc_u32_e32 v13, 2, v9
	s_wait_dscnt 0x0
	ds_bpermute_b32 v10, v10, v8
	v_add_nc_u32_e32 v12, 1, v9
	v_cndmask_b32_e64 v11, 0, 2, vcc_lo
	s_delay_alu instid0(VALU_DEP_1)
	v_add_lshl_u32 v11, v11, v1, 2
	s_wait_dscnt 0x0
	v_add_f32_e32 v10, v8, v10
	v_cmp_gt_u32_e32 vcc_lo, s29, v12
	v_cndmask_b32_e64 v12, 0, 4, s9
	v_cmp_gt_u32_e64 s9, s29, v13
	s_delay_alu instid0(VALU_DEP_4) | instskip(NEXT) | instid1(VALU_DEP_3)
	v_cndmask_b32_e32 v10, v8, v10, vcc_lo
	v_add_lshl_u32 v12, v12, v1, 2
	ds_bpermute_b32 v11, v11, v10
	s_wait_dscnt 0x0
	v_add_f32_e32 v11, v10, v11
	s_delay_alu instid0(VALU_DEP_1) | instskip(SKIP_2) | instid1(VALU_DEP_1)
	v_cndmask_b32_e64 v10, v10, v11, s9
	ds_bpermute_b32 v11, v12, v10
	v_dual_add_nc_u32 v12, 4, v9 :: v_dual_add_nc_u32 v9, 8, v9
	v_cmp_gt_u32_e64 s9, s29, v12
	s_wait_dscnt 0x0
	v_add_f32_e32 v11, v10, v11
	s_delay_alu instid0(VALU_DEP_1) | instskip(SKIP_4) | instid1(VALU_DEP_1)
	v_dual_cndmask_b32 v10, v10, v11, s9 :: v_dual_bitop2_b32 v11, 32, v2 bitop3:0x54
	v_cmp_gt_u32_e64 s9, s29, v9
	ds_bpermute_b32 v11, v11, v10
	s_wait_dscnt 0x0
	v_add_f32_e32 v11, v10, v11
	v_cndmask_b32_e64 v9, v10, v11, s9
	s_delay_alu instid0(VALU_DEP_1)
	v_cndmask_b32_e32 v8, v8, v9, vcc_lo
.LBB10_54:
	s_or_b32 exec_lo, exec_lo, s17
	v_cmp_eq_u32_e64 s9, 0, v0
	s_and_saveexec_b32 s17, s9
	s_cbranch_execz .LBB10_56
; %bb.55:
	s_cvt_f32_i32 s23, s23
	s_delay_alu instid0(SALU_CYCLE_3) | instskip(SKIP_1) | instid1(VALU_DEP_2)
	v_div_scale_f32 v9, null, s23, s23, v8
	v_div_scale_f32 v12, vcc_lo, v8, s23, v8
	v_rcp_f32_e32 v10, v9
	v_nop
	s_delay_alu instid0(TRANS32_DEP_1) | instskip(NEXT) | instid1(VALU_DEP_1)
	v_fma_f32 v11, -v9, v10, 1.0
	v_fmac_f32_e32 v10, v11, v10
	s_delay_alu instid0(VALU_DEP_1) | instskip(NEXT) | instid1(VALU_DEP_1)
	v_mul_f32_e32 v11, v12, v10
	v_fma_f32 v13, -v9, v11, v12
	s_delay_alu instid0(VALU_DEP_1) | instskip(NEXT) | instid1(VALU_DEP_1)
	v_fmac_f32_e32 v11, v13, v10
	v_fma_f32 v9, -v9, v11, v12
	s_delay_alu instid0(VALU_DEP_1) | instskip(NEXT) | instid1(VALU_DEP_1)
	v_div_fmas_f32 v9, v9, v10, v11
	v_div_fixup_f32 v8, v9, s23, v8
	s_delay_alu instid0(VALU_DEP_1) | instskip(NEXT) | instid1(VALU_DEP_1)
	v_add_f32_e32 v8, s22, v8
	v_mul_f32_e32 v9, 0x4b800000, v8
	v_cmp_gt_f32_e32 vcc_lo, 0x800000, v8
	s_delay_alu instid0(VALU_DEP_2) | instskip(NEXT) | instid1(VALU_DEP_1)
	v_cndmask_b32_e32 v8, v8, v9, vcc_lo
	v_rsq_f32_e32 v8, v8
	v_nop
	s_delay_alu instid0(TRANS32_DEP_1) | instskip(NEXT) | instid1(VALU_DEP_1)
	v_mul_f32_e32 v9, 0x45800000, v8
	v_dual_cndmask_b32 v8, v8, v9 :: v_dual_mov_b32 v9, 0
	ds_store_b32 v9, v8 offset:256
.LBB10_56:
	s_or_b32 exec_lo, exec_lo, s17
	v_mov_b32_e32 v8, 0
	s_wait_dscnt 0x0
	s_barrier_signal -1
	s_barrier_wait -1
	ds_load_b32 v10, v8 offset:256
	s_and_saveexec_b32 s17, s2
	s_cbranch_execz .LBB10_66
; %bb.57:
	v_dual_mov_b32 v8, 0 :: v_dual_mov_b32 v9, v0
	s_lshl_b32 s22, s16, 1
	s_mul_i32 s29, s16, 3
	s_mov_b32 s23, 0
	s_add_co_i32 s30, s16, s16
                                        ; implicit-def: $sgpr31
	s_branch .LBB10_61
.LBB10_58:                              ;   in Loop: Header=BB10_61 Depth=1
	s_or_b32 exec_lo, exec_lo, s35
	s_delay_alu instid0(SALU_CYCLE_1)
	s_or_not1_b32 s35, s36, exec_lo
.LBB10_59:                              ;   in Loop: Header=BB10_61 Depth=1
	s_or_b32 exec_lo, exec_lo, s34
	s_delay_alu instid0(SALU_CYCLE_1) | instskip(SKIP_1) | instid1(SALU_CYCLE_1)
	s_and_not1_b32 s31, s31, exec_lo
	s_and_b32 s34, s35, exec_lo
	s_or_b32 s31, s31, s34
.LBB10_60:                              ;   in Loop: Header=BB10_61 Depth=1
	s_or_b32 exec_lo, exec_lo, s33
	s_delay_alu instid0(SALU_CYCLE_1) | instskip(NEXT) | instid1(SALU_CYCLE_1)
	s_and_b32 s33, exec_lo, s31
	s_or_b32 s23, s33, s23
	s_delay_alu instid0(SALU_CYCLE_1)
	s_and_not1_b32 exec_lo, exec_lo, s23
	s_cbranch_execz .LBB10_65
.LBB10_61:                              ; =>This Inner Loop Header: Depth=1
	s_clause 0x1
	global_load_b64 v[12:13], v9, s[18:19] scale_offset
	global_load_b64 v[14:15], v9, s[10:11] scale_offset
	s_or_b32 s31, s31, exec_lo
	s_mov_b32 s33, exec_lo
	s_wait_loadcnt 0x1
	v_dual_lshrrev_b32 v11, 16, v12 :: v_dual_lshrrev_b32 v17, 16, v13
	s_wait_loadcnt_dscnt 0x0
	v_fma_mixlo_f16 v16, v10, v14, 0 op_sel_hi:[0,1,0]
	v_fma_mixlo_f16 v14, v10, v14, 0 op_sel:[0,1,0] op_sel_hi:[0,1,0]
	v_fma_mixlo_f16 v18, v10, v15, 0 op_sel_hi:[0,1,0]
	v_fma_mixlo_f16 v15, v10, v15, 0 op_sel:[0,1,0] op_sel_hi:[0,1,0]
	s_delay_alu instid0(VALU_DEP_4) | instskip(NEXT) | instid1(VALU_DEP_4)
	v_mul_f16_e32 v12, v12, v16
	v_mul_f16_e32 v11, v11, v14
	s_delay_alu instid0(VALU_DEP_4) | instskip(NEXT) | instid1(VALU_DEP_4)
	v_mul_f16_e32 v13, v13, v18
	v_mul_f16_e32 v14, v17, v15
	s_delay_alu instid0(VALU_DEP_4) | instskip(NEXT) | instid1(VALU_DEP_4)
	v_cvt_f32_f16_e64 v12, |v12|
	v_cvt_f32_f16_e64 v11, |v11|
	s_delay_alu instid0(VALU_DEP_4) | instskip(NEXT) | instid1(VALU_DEP_4)
	v_cvt_f32_f16_e64 v13, |v13|
	v_cvt_f32_f16_e64 v14, |v14|
	s_delay_alu instid0(VALU_DEP_3) | instskip(SKIP_1) | instid1(VALU_DEP_2)
	v_max3_num_f32 v8, v8, v12, v11
	v_add_nc_u32_e32 v11, s16, v9
	v_max3_num_f32 v8, v8, v13, v14
	s_delay_alu instid0(VALU_DEP_2)
	v_cmpx_gt_u32_e64 s28, v11
	s_cbranch_execz .LBB10_60
; %bb.62:                               ;   in Loop: Header=BB10_61 Depth=1
	s_clause 0x1
	global_load_b64 v[12:13], v11, s[18:19] scale_offset
	global_load_b64 v[14:15], v11, s[10:11] scale_offset
	s_mov_b32 s35, -1
	s_mov_b32 s34, exec_lo
	s_wait_loadcnt 0x1
	v_dual_lshrrev_b32 v16, 16, v12 :: v_dual_lshrrev_b32 v18, 16, v13
	s_wait_loadcnt 0x0
	v_fma_mixlo_f16 v17, v10, v14, 0 op_sel_hi:[0,1,0]
	v_fma_mixlo_f16 v14, v10, v14, 0 op_sel:[0,1,0] op_sel_hi:[0,1,0]
	v_fma_mixlo_f16 v19, v10, v15, 0 op_sel_hi:[0,1,0]
	v_fma_mixlo_f16 v15, v10, v15, 0 op_sel:[0,1,0] op_sel_hi:[0,1,0]
	s_delay_alu instid0(VALU_DEP_4) | instskip(NEXT) | instid1(VALU_DEP_4)
	v_mul_f16_e32 v12, v12, v17
	v_mul_f16_e32 v14, v16, v14
	s_delay_alu instid0(VALU_DEP_4) | instskip(NEXT) | instid1(VALU_DEP_4)
	v_mul_f16_e32 v13, v13, v19
	v_mul_f16_e32 v15, v18, v15
	s_delay_alu instid0(VALU_DEP_4) | instskip(NEXT) | instid1(VALU_DEP_4)
	v_cvt_f32_f16_e64 v12, |v12|
	v_cvt_f32_f16_e64 v14, |v14|
	s_delay_alu instid0(VALU_DEP_4) | instskip(NEXT) | instid1(VALU_DEP_4)
	v_cvt_f32_f16_e64 v13, |v13|
	v_cvt_f32_f16_e64 v15, |v15|
	s_delay_alu instid0(VALU_DEP_3) | instskip(SKIP_1) | instid1(VALU_DEP_2)
	v_max3_num_f32 v8, v8, v12, v14
	v_add_nc_u32_e32 v12, s22, v9
	v_max3_num_f32 v8, v8, v13, v15
	s_delay_alu instid0(VALU_DEP_2)
	v_cmpx_gt_u32_e64 s28, v12
	s_cbranch_execz .LBB10_59
; %bb.63:                               ;   in Loop: Header=BB10_61 Depth=1
	s_clause 0x1
	global_load_b64 v[14:15], v12, s[18:19] scale_offset
	global_load_b64 v[16:17], v12, s[10:11] scale_offset
	s_mov_b32 s36, -1
	s_mov_b32 s35, exec_lo
	s_wait_loadcnt 0x1
	s_wait_xcnt 0x0
	v_dual_lshrrev_b32 v12, 16, v14 :: v_dual_lshrrev_b32 v18, 16, v15
	s_wait_loadcnt 0x0
	v_fma_mixlo_f16 v13, v10, v16, 0 op_sel_hi:[0,1,0]
	v_fma_mixlo_f16 v16, v10, v16, 0 op_sel:[0,1,0] op_sel_hi:[0,1,0]
	v_fma_mixlo_f16 v19, v10, v17, 0 op_sel_hi:[0,1,0]
	v_fma_mixlo_f16 v17, v10, v17, 0 op_sel:[0,1,0] op_sel_hi:[0,1,0]
	s_delay_alu instid0(VALU_DEP_4) | instskip(NEXT) | instid1(VALU_DEP_4)
	v_mul_f16_e32 v13, v14, v13
	v_mul_f16_e32 v12, v12, v16
	s_delay_alu instid0(VALU_DEP_4) | instskip(NEXT) | instid1(VALU_DEP_4)
	v_mul_f16_e32 v14, v15, v19
	v_mul_f16_e32 v15, v18, v17
	s_delay_alu instid0(VALU_DEP_4) | instskip(NEXT) | instid1(VALU_DEP_4)
	v_cvt_f32_f16_e64 v13, |v13|
	v_cvt_f32_f16_e64 v12, |v12|
	s_delay_alu instid0(VALU_DEP_4) | instskip(NEXT) | instid1(VALU_DEP_4)
	v_cvt_f32_f16_e64 v14, |v14|
	v_cvt_f32_f16_e64 v15, |v15|
	s_delay_alu instid0(VALU_DEP_3) | instskip(SKIP_1) | instid1(VALU_DEP_2)
	v_max3_num_f32 v8, v8, v13, v12
	v_add_nc_u32_e32 v12, s29, v9
                                        ; implicit-def: $vgpr9
	v_max3_num_f32 v8, v8, v14, v15
	s_delay_alu instid0(VALU_DEP_2)
	v_cmpx_gt_u32_e64 s28, v12
	s_xor_b32 s35, exec_lo, s35
	s_cbranch_execz .LBB10_58
; %bb.64:                               ;   in Loop: Header=BB10_61 Depth=1
	s_clause 0x1
	global_load_b64 v[14:15], v12, s[18:19] scale_offset
	global_load_b64 v[16:17], v12, s[10:11] scale_offset
	s_wait_loadcnt 0x1
	v_lshrrev_b32_e32 v9, 16, v14
	s_wait_loadcnt 0x0
	v_fma_mixlo_f16 v12, v10, v16, 0 op_sel_hi:[0,1,0]
	v_fma_mixlo_f16 v13, v10, v16, 0 op_sel:[0,1,0] op_sel_hi:[0,1,0]
	v_lshrrev_b32_e32 v16, 16, v15
	v_fma_mixlo_f16 v18, v10, v17, 0 op_sel_hi:[0,1,0]
	s_delay_alu instid0(VALU_DEP_4) | instskip(NEXT) | instid1(VALU_DEP_4)
	v_mul_f16_e32 v12, v14, v12
	v_mul_f16_e32 v9, v9, v13
	v_fma_mixlo_f16 v13, v10, v17, 0 op_sel:[0,1,0] op_sel_hi:[0,1,0]
	s_delay_alu instid0(VALU_DEP_4) | instskip(NEXT) | instid1(VALU_DEP_4)
	v_mul_f16_e32 v14, v15, v18
	v_cvt_f32_f16_e64 v12, |v12|
	s_delay_alu instid0(VALU_DEP_4) | instskip(NEXT) | instid1(VALU_DEP_4)
	v_cvt_f32_f16_e64 v15, |v9|
	v_mul_f16_e32 v13, v16, v13
	v_add3_u32 v9, s30, s16, v11
	v_cvt_f32_f16_e64 v11, |v14|
	s_delay_alu instid0(VALU_DEP_4) | instskip(NEXT) | instid1(VALU_DEP_4)
	v_max3_num_f32 v8, v8, v12, v15
	v_cvt_f32_f16_e64 v12, |v13|
	s_delay_alu instid0(VALU_DEP_4) | instskip(NEXT) | instid1(VALU_DEP_2)
	v_cmp_le_u32_e32 vcc_lo, s28, v9
	v_max3_num_f32 v8, v8, v11, v12
	s_or_not1_b32 s36, vcc_lo, exec_lo
	s_branch .LBB10_58
.LBB10_65:
	s_or_b32 exec_lo, exec_lo, s23
.LBB10_66:
	s_delay_alu instid0(SALU_CYCLE_1)
	s_or_b32 exec_lo, exec_lo, s17
	ds_bpermute_b32 v3, v3, v8
	v_or_b32_e32 v9, 0x80, v2
	s_wait_dscnt 0x0
	v_cmp_lt_f32_e32 vcc_lo, v8, v3
	v_cndmask_b32_e32 v3, v8, v3, vcc_lo
	s_delay_alu instid0(VALU_DEP_1) | instskip(SKIP_1) | instid1(SALU_CYCLE_1)
	v_cndmask_b32_e64 v3, v8, v3, s0
	s_or_b32 s0, s0, s1
	s_or_b32 s0, s3, s0
	s_delay_alu instid0(SALU_CYCLE_1)
	s_or_b32 s0, s4, s0
	ds_bpermute_b32 v4, v4, v3
	s_or_b32 s0, s5, s0
	s_wait_dscnt 0x0
	v_cmp_lt_f32_e32 vcc_lo, v3, v4
	v_cndmask_b32_e32 v4, v3, v4, vcc_lo
	s_delay_alu instid0(VALU_DEP_1) | instskip(SKIP_4) | instid1(VALU_DEP_1)
	v_cndmask_b32_e64 v3, v3, v4, s1
	ds_bpermute_b32 v4, v5, v3
	s_wait_dscnt 0x0
	v_cmp_lt_f32_e32 vcc_lo, v3, v4
	v_cndmask_b32_e32 v4, v3, v4, vcc_lo
	v_cndmask_b32_e64 v3, v3, v4, s3
	ds_bpermute_b32 v4, v6, v3
	s_wait_dscnt 0x0
	v_cmp_lt_f32_e32 vcc_lo, v3, v4
	v_cndmask_b32_e32 v4, v3, v4, vcc_lo
	s_delay_alu instid0(VALU_DEP_1) | instskip(SKIP_4) | instid1(VALU_DEP_1)
	v_cndmask_b32_e64 v3, v3, v4, s4
	ds_bpermute_b32 v4, v7, v3
	s_wait_dscnt 0x0
	v_cmp_lt_f32_e32 vcc_lo, v3, v4
	v_cndmask_b32_e32 v4, v3, v4, vcc_lo
	v_cndmask_b32_e64 v3, v3, v4, s5
	ds_bpermute_b32 v4, v9, v3
	s_wait_dscnt 0x0
	v_cmp_lt_f32_e32 vcc_lo, v3, v4
	s_and_b32 vcc_lo, s8, vcc_lo
	v_cndmask_b32_e32 v3, v3, v4, vcc_lo
	s_or_b32 vcc_lo, s8, s0
	s_delay_alu instid0(VALU_DEP_1)
	v_cndmask_b32_e32 v3, v8, v3, vcc_lo
	s_and_saveexec_b32 s0, s6
; %bb.67:
	v_lshrrev_b32_e32 v4, 4, v0
	s_delay_alu instid0(VALU_DEP_1)
	v_and_b32_e32 v4, 60, v4
	ds_store_b32 v4, v3 offset:64
; %bb.68:
	s_or_b32 exec_lo, exec_lo, s0
	s_wait_dscnt 0x0
	s_barrier_signal -1
	s_barrier_wait -1
	s_and_saveexec_b32 s3, s7
	s_cbranch_execz .LBB10_70
; %bb.69:
	ds_load_b32 v3, v2 offset:64
	v_and_b32_e32 v4, 15, v1
	s_add_co_i32 s0, s16, 63
	v_or_b32_e32 v2, 32, v2
	s_lshr_b32 s1, s0, 6
	s_delay_alu instid0(VALU_DEP_2) | instskip(SKIP_4) | instid1(VALU_DEP_3)
	v_cmp_ne_u32_e32 vcc_lo, 15, v4
	v_add_nc_u32_e32 v6, 1, v4
	v_cmp_gt_u32_e64 s0, 12, v4
	v_add_co_ci_u32_e64 v5, null, 0, v1, vcc_lo
	v_cmp_gt_u32_e32 vcc_lo, 14, v4
	v_cndmask_b32_e64 v8, 0, 4, s0
	s_delay_alu instid0(VALU_DEP_3)
	v_lshlrev_b32_e32 v5, 2, v5
	v_cndmask_b32_e64 v7, 0, 2, vcc_lo
	s_wait_dscnt 0x0
	ds_bpermute_b32 v5, v5, v3
	v_add_lshl_u32 v7, v7, v1, 2
	v_add_lshl_u32 v1, v8, v1, 2
	s_wait_dscnt 0x0
	v_cmp_lt_f32_e32 vcc_lo, v3, v5
	v_cndmask_b32_e32 v5, v3, v5, vcc_lo
	v_cmp_gt_u32_e32 vcc_lo, s1, v6
	s_delay_alu instid0(VALU_DEP_2) | instskip(SKIP_3) | instid1(VALU_DEP_1)
	v_cndmask_b32_e32 v5, v3, v5, vcc_lo
	ds_bpermute_b32 v6, v7, v5
	s_wait_dscnt 0x0
	v_cmp_lt_f32_e64 s0, v5, v6
	v_dual_cndmask_b32 v6, v5, v6, s0 :: v_dual_add_nc_u32 v7, 2, v4
	s_delay_alu instid0(VALU_DEP_1) | instskip(NEXT) | instid1(VALU_DEP_1)
	v_cmp_gt_u32_e64 s0, s1, v7
	v_dual_cndmask_b32 v5, v5, v6, s0 :: v_dual_add_nc_u32 v6, 4, v4
	v_add_nc_u32_e32 v4, 8, v4
	ds_bpermute_b32 v1, v1, v5
	s_wait_dscnt 0x0
	v_cmp_lt_f32_e64 s0, v5, v1
	s_delay_alu instid0(VALU_DEP_1) | instskip(SKIP_1) | instid1(VALU_DEP_1)
	v_cndmask_b32_e64 v1, v5, v1, s0
	v_cmp_gt_u32_e64 s0, s1, v6
	v_cndmask_b32_e64 v1, v5, v1, s0
	v_cmp_gt_u32_e64 s0, s1, v4
	ds_bpermute_b32 v2, v2, v1
	s_wait_dscnt 0x0
	v_cmp_lt_f32_e64 s1, v1, v2
	s_and_b32 s0, s0, s1
	s_delay_alu instid0(SALU_CYCLE_1) | instskip(NEXT) | instid1(VALU_DEP_1)
	v_cndmask_b32_e64 v1, v1, v2, s0
	v_cndmask_b32_e32 v3, v3, v1, vcc_lo
.LBB10_70:
	s_or_b32 exec_lo, exec_lo, s3
	s_and_saveexec_b32 s0, s9
	s_cbranch_execz .LBB10_74
; %bb.71:
	s_cmp_eq_u64 s[20:21], 0
	s_cbranch_scc1 .LBB10_73
; %bb.72:
	v_dual_mov_b32 v1, 0 :: v_dual_max_num_f32 v2, v3, v3
	global_load_b32 v1, v1, s[20:21]
	s_wait_loadcnt 0x0
	v_max_num_f32_e32 v1, v1, v1
	s_delay_alu instid0(VALU_DEP_1)
	v_min_num_f32_e32 v3, v2, v1
.LBB10_73:
	s_delay_alu instid0(VALU_DEP_1)
	v_div_scale_f32 v1, null, 0x43600000, 0x43600000, v3
	v_div_scale_f32 v5, vcc_lo, v3, 0x43600000, v3
	s_lshl_b64 s[4:5], s[26:27], 2
	v_rcp_f32_e32 v2, v1
	s_add_nc_u64 s[4:5], s[14:15], s[4:5]
	v_nop
	s_delay_alu instid0(TRANS32_DEP_1) | instskip(NEXT) | instid1(VALU_DEP_1)
	v_fma_f32 v4, -v1, v2, 1.0
	v_fmac_f32_e32 v2, v4, v2
	s_delay_alu instid0(VALU_DEP_1) | instskip(NEXT) | instid1(VALU_DEP_1)
	v_mul_f32_e32 v4, v5, v2
	v_fma_f32 v6, -v1, v4, v5
	s_delay_alu instid0(VALU_DEP_1) | instskip(NEXT) | instid1(VALU_DEP_1)
	v_fmac_f32_e32 v4, v6, v2
	v_fma_f32 v1, -v1, v4, v5
	s_delay_alu instid0(VALU_DEP_1) | instskip(SKIP_1) | instid1(VALU_DEP_2)
	v_div_fmas_f32 v1, v1, v2, v4
	v_mov_b32_e32 v2, 0
	v_div_fixup_f32 v1, v1, 0x43600000, v3
	s_delay_alu instid0(VALU_DEP_1)
	v_max_num_f32_e32 v1, 0x37124925, v1
	ds_store_b32 v2, v1 offset:260
	global_store_b32 v2, v1, s[4:5]
.LBB10_74:
	s_wait_xcnt 0x0
	s_or_b32 exec_lo, exec_lo, s0
	s_wait_storecnt_dscnt 0x0
	s_barrier_signal -1
	s_barrier_wait -1
	s_and_saveexec_b32 s0, s2
	s_cbranch_execz .LBB10_211
; %bb.75:
	v_mov_b32_e32 v1, 0
	s_add_nc_u64 s[0:1], s[12:13], s[24:25]
	s_lshl_b32 s2, s16, 1
	s_mul_i32 s3, s16, 3
	s_mov_b32 s4, 0
	ds_load_b32 v11, v1 offset:260
	s_mov_b32 s5, 0x43600000
	s_add_co_i32 s6, s16, s16
	s_branch .LBB10_81
.LBB10_76:                              ;   in Loop: Header=BB10_81 Depth=1
	s_or_b32 exec_lo, exec_lo, s14
.LBB10_77:                              ;   in Loop: Header=BB10_81 Depth=1
	s_delay_alu instid0(SALU_CYCLE_1) | instskip(SKIP_3) | instid1(VALU_DEP_2)
	s_or_b32 exec_lo, exec_lo, s12
	v_lshl_add_u64 v[12:13], v[0:1], 2, s[0:1]
	v_add3_u32 v0, s6, s16, v2
	v_or_b32_e32 v2, v4, v3
	v_cmp_le_u32_e32 vcc_lo, s28, v0
	s_delay_alu instid0(VALU_DEP_2)
	v_or3_b32 v2, v2, v6, v8
	s_or_not1_b32 s12, vcc_lo, exec_lo
	global_store_b32 v[12:13], v2, off
.LBB10_78:                              ;   in Loop: Header=BB10_81 Depth=1
	s_wait_xcnt 0x0
	s_or_b32 exec_lo, exec_lo, s9
	s_delay_alu instid0(SALU_CYCLE_1)
	s_or_not1_b32 s9, s12, exec_lo
.LBB10_79:                              ;   in Loop: Header=BB10_81 Depth=1
	s_or_b32 exec_lo, exec_lo, s8
	s_delay_alu instid0(SALU_CYCLE_1)
	s_or_not1_b32 s8, s9, exec_lo
.LBB10_80:                              ;   in Loop: Header=BB10_81 Depth=1
	s_or_b32 exec_lo, exec_lo, s7
	s_delay_alu instid0(SALU_CYCLE_1) | instskip(NEXT) | instid1(SALU_CYCLE_1)
	s_and_b32 s7, exec_lo, s8
	s_or_b32 s4, s7, s4
	s_delay_alu instid0(SALU_CYCLE_1)
	s_and_not1_b32 exec_lo, exec_lo, s4
	s_cbranch_execz .LBB10_211
.LBB10_81:                              ; =>This Inner Loop Header: Depth=1
	s_clause 0x1
	global_load_b64 v[2:3], v0, s[10:11] scale_offset
	global_load_b64 v[4:5], v0, s[18:19] scale_offset
	s_mov_b32 s7, exec_lo
	s_wait_loadcnt 0x1
	v_fma_mixlo_f16 v6, v10, v2, 0 op_sel_hi:[0,1,0]
	s_wait_loadcnt 0x0
	s_delay_alu instid0(VALU_DEP_1) | instskip(NEXT) | instid1(VALU_DEP_1)
	v_mul_f16_e32 v6, v4, v6
	v_cvt_f32_f16_e32 v6, v6
	s_wait_dscnt 0x0
	s_delay_alu instid0(VALU_DEP_1) | instskip(SKIP_1) | instid1(VALU_DEP_2)
	v_div_scale_f32 v7, null, v11, v11, v6
	v_div_scale_f32 v12, vcc_lo, v6, v11, v6
	v_rcp_f32_e32 v8, v7
	v_nop
	s_delay_alu instid0(TRANS32_DEP_1) | instskip(NEXT) | instid1(VALU_DEP_1)
	v_fma_f32 v9, -v7, v8, 1.0
	v_fmac_f32_e32 v8, v9, v8
	s_delay_alu instid0(VALU_DEP_1) | instskip(NEXT) | instid1(VALU_DEP_1)
	v_mul_f32_e32 v9, v12, v8
	v_fma_f32 v13, -v7, v9, v12
	s_delay_alu instid0(VALU_DEP_1) | instskip(NEXT) | instid1(VALU_DEP_1)
	v_fmac_f32_e32 v9, v13, v8
	v_fma_f32 v7, -v7, v9, v12
	s_delay_alu instid0(VALU_DEP_1) | instskip(NEXT) | instid1(VALU_DEP_1)
	v_div_fmas_f32 v7, v7, v8, v9
	v_div_fixup_f32 v6, v7, v11, v6
	s_delay_alu instid0(VALU_DEP_1) | instskip(SKIP_1) | instid1(VALU_DEP_2)
	v_minmax_num_f32 v7, v6, s5, 0xc3600000
	v_mov_b32_e32 v6, 0x80
	v_and_b32_e32 v8, 0x7fffffff, v7
	s_wait_xcnt 0x0
	s_delay_alu instid0(VALU_DEP_1)
	v_cmpx_gt_u32_e32 0x43800000, v8
	s_cbranch_execz .LBB10_87
; %bb.82:                               ;   in Loop: Header=BB10_81 Depth=1
	v_cmp_lt_u32_e32 vcc_lo, 0x3bffffff, v8
	s_mov_b32 s8, 0
                                        ; implicit-def: $vgpr8
	s_and_saveexec_b32 s9, vcc_lo
	s_delay_alu instid0(SALU_CYCLE_1)
	s_xor_b32 s9, exec_lo, s9
	s_cbranch_execnz .LBB10_178
; %bb.83:                               ;   in Loop: Header=BB10_81 Depth=1
	s_and_not1_saveexec_b32 s9, s9
	s_cbranch_execnz .LBB10_179
.LBB10_84:                              ;   in Loop: Header=BB10_81 Depth=1
	s_or_b32 exec_lo, exec_lo, s9
	v_mov_b32_e32 v6, 0
	s_and_saveexec_b32 s9, s8
.LBB10_85:                              ;   in Loop: Header=BB10_81 Depth=1
	v_lshrrev_b32_e32 v6, 24, v7
	s_delay_alu instid0(VALU_DEP_1)
	v_and_or_b32 v6, 0x80, v6, v8
.LBB10_86:                              ;   in Loop: Header=BB10_81 Depth=1
	s_or_b32 exec_lo, exec_lo, s9
.LBB10_87:                              ;   in Loop: Header=BB10_81 Depth=1
	s_delay_alu instid0(SALU_CYCLE_1) | instskip(SKIP_3) | instid1(VALU_DEP_1)
	s_or_b32 exec_lo, exec_lo, s7
	v_lshrrev_b32_e32 v4, 16, v4
	v_fma_mixlo_f16 v2, v10, v2, 0 op_sel:[0,1,0] op_sel_hi:[0,1,0]
	s_mov_b32 s7, exec_lo
	v_mul_f16_e32 v2, v4, v2
	s_delay_alu instid0(VALU_DEP_1) | instskip(NEXT) | instid1(VALU_DEP_1)
	v_cvt_f32_f16_e32 v2, v2
	v_div_scale_f32 v4, null, v11, v11, v2
	v_div_scale_f32 v9, vcc_lo, v2, v11, v2
	s_delay_alu instid0(VALU_DEP_2) | instskip(SKIP_1) | instid1(TRANS32_DEP_1)
	v_rcp_f32_e32 v7, v4
	v_nop
	v_fma_f32 v8, -v4, v7, 1.0
	s_delay_alu instid0(VALU_DEP_1) | instskip(NEXT) | instid1(VALU_DEP_1)
	v_fmac_f32_e32 v7, v8, v7
	v_mul_f32_e32 v8, v9, v7
	s_delay_alu instid0(VALU_DEP_1) | instskip(NEXT) | instid1(VALU_DEP_1)
	v_fma_f32 v12, -v4, v8, v9
	v_fmac_f32_e32 v8, v12, v7
	s_delay_alu instid0(VALU_DEP_1) | instskip(NEXT) | instid1(VALU_DEP_1)
	v_fma_f32 v4, -v4, v8, v9
	v_div_fmas_f32 v4, v4, v7, v8
	s_delay_alu instid0(VALU_DEP_1) | instskip(NEXT) | instid1(VALU_DEP_1)
	v_div_fixup_f32 v2, v4, v11, v2
	v_minmax_num_f32 v4, v2, s5, 0xc3600000
	v_mov_b32_e32 v2, 0x8000
	s_delay_alu instid0(VALU_DEP_2) | instskip(NEXT) | instid1(VALU_DEP_1)
	v_and_b32_e32 v7, 0x7fffffff, v4
	v_cmpx_gt_u32_e32 0x43800000, v7
	s_cbranch_execz .LBB10_93
; %bb.88:                               ;   in Loop: Header=BB10_81 Depth=1
	v_cmp_lt_u32_e32 vcc_lo, 0x3bffffff, v7
	s_mov_b32 s8, 0
                                        ; implicit-def: $vgpr7
	s_and_saveexec_b32 s9, vcc_lo
	s_delay_alu instid0(SALU_CYCLE_1)
	s_xor_b32 s9, exec_lo, s9
	s_cbranch_execnz .LBB10_180
; %bb.89:                               ;   in Loop: Header=BB10_81 Depth=1
	s_and_not1_saveexec_b32 s9, s9
	s_cbranch_execnz .LBB10_181
.LBB10_90:                              ;   in Loop: Header=BB10_81 Depth=1
	s_or_b32 exec_lo, exec_lo, s9
	v_mov_b32_e32 v2, 0
	s_and_saveexec_b32 s9, s8
.LBB10_91:                              ;   in Loop: Header=BB10_81 Depth=1
	v_lshrrev_b32_e32 v2, 24, v4
	s_delay_alu instid0(VALU_DEP_1) | instskip(NEXT) | instid1(VALU_DEP_1)
	v_and_or_b32 v2, 0x80, v2, v7
	v_lshlrev_b32_e32 v2, 8, v2
.LBB10_92:                              ;   in Loop: Header=BB10_81 Depth=1
	s_or_b32 exec_lo, exec_lo, s9
.LBB10_93:                              ;   in Loop: Header=BB10_81 Depth=1
	s_delay_alu instid0(SALU_CYCLE_1) | instskip(SKIP_2) | instid1(VALU_DEP_1)
	s_or_b32 exec_lo, exec_lo, s7
	v_fma_mixlo_f16 v4, v10, v3, 0 op_sel_hi:[0,1,0]
	s_mov_b32 s7, exec_lo
	v_mul_f16_e32 v4, v5, v4
	s_delay_alu instid0(VALU_DEP_1) | instskip(NEXT) | instid1(VALU_DEP_1)
	v_cvt_f32_f16_e32 v4, v4
	v_div_scale_f32 v7, null, v11, v11, v4
	v_div_scale_f32 v12, vcc_lo, v4, v11, v4
	s_delay_alu instid0(VALU_DEP_2) | instskip(SKIP_1) | instid1(TRANS32_DEP_1)
	v_rcp_f32_e32 v8, v7
	v_nop
	v_fma_f32 v9, -v7, v8, 1.0
	s_delay_alu instid0(VALU_DEP_1) | instskip(NEXT) | instid1(VALU_DEP_1)
	v_fmac_f32_e32 v8, v9, v8
	v_mul_f32_e32 v9, v12, v8
	s_delay_alu instid0(VALU_DEP_1) | instskip(NEXT) | instid1(VALU_DEP_1)
	v_fma_f32 v13, -v7, v9, v12
	v_fmac_f32_e32 v9, v13, v8
	s_delay_alu instid0(VALU_DEP_1) | instskip(NEXT) | instid1(VALU_DEP_1)
	v_fma_f32 v7, -v7, v9, v12
	v_div_fmas_f32 v7, v7, v8, v9
	s_delay_alu instid0(VALU_DEP_1) | instskip(NEXT) | instid1(VALU_DEP_1)
	v_div_fixup_f32 v4, v7, v11, v4
	v_minmax_num_f32 v7, v4, s5, 0xc3600000
	v_mov_b32_e32 v4, 0x800000
	s_delay_alu instid0(VALU_DEP_2) | instskip(NEXT) | instid1(VALU_DEP_1)
	v_and_b32_e32 v8, 0x7fffffff, v7
	v_cmpx_gt_u32_e32 0x43800000, v8
	s_cbranch_execz .LBB10_99
; %bb.94:                               ;   in Loop: Header=BB10_81 Depth=1
	v_cmp_lt_u32_e32 vcc_lo, 0x3bffffff, v8
	s_mov_b32 s8, 0
                                        ; implicit-def: $vgpr8
	s_and_saveexec_b32 s9, vcc_lo
	s_delay_alu instid0(SALU_CYCLE_1)
	s_xor_b32 s9, exec_lo, s9
	s_cbranch_execnz .LBB10_182
; %bb.95:                               ;   in Loop: Header=BB10_81 Depth=1
	s_and_not1_saveexec_b32 s9, s9
	s_cbranch_execnz .LBB10_183
.LBB10_96:                              ;   in Loop: Header=BB10_81 Depth=1
	s_or_b32 exec_lo, exec_lo, s9
	v_mov_b32_e32 v4, 0
	s_and_saveexec_b32 s9, s8
.LBB10_97:                              ;   in Loop: Header=BB10_81 Depth=1
	v_lshrrev_b32_e32 v4, 24, v7
	s_delay_alu instid0(VALU_DEP_1) | instskip(NEXT) | instid1(VALU_DEP_1)
	v_and_or_b32 v4, 0x80, v4, v8
	v_lshlrev_b32_e32 v4, 16, v4
.LBB10_98:                              ;   in Loop: Header=BB10_81 Depth=1
	s_or_b32 exec_lo, exec_lo, s9
.LBB10_99:                              ;   in Loop: Header=BB10_81 Depth=1
	s_delay_alu instid0(SALU_CYCLE_1) | instskip(SKIP_3) | instid1(VALU_DEP_1)
	s_or_b32 exec_lo, exec_lo, s7
	v_lshrrev_b32_e32 v5, 16, v5
	v_fma_mixlo_f16 v3, v10, v3, 0 op_sel:[0,1,0] op_sel_hi:[0,1,0]
	s_mov_b32 s7, exec_lo
	v_mul_f16_e32 v3, v5, v3
	s_delay_alu instid0(VALU_DEP_1) | instskip(NEXT) | instid1(VALU_DEP_1)
	v_cvt_f32_f16_e32 v3, v3
	v_div_scale_f32 v5, null, v11, v11, v3
	v_div_scale_f32 v9, vcc_lo, v3, v11, v3
	s_delay_alu instid0(VALU_DEP_2) | instskip(SKIP_1) | instid1(TRANS32_DEP_1)
	v_rcp_f32_e32 v7, v5
	v_nop
	v_fma_f32 v8, -v5, v7, 1.0
	s_delay_alu instid0(VALU_DEP_1) | instskip(NEXT) | instid1(VALU_DEP_1)
	v_fmac_f32_e32 v7, v8, v7
	v_mul_f32_e32 v8, v9, v7
	s_delay_alu instid0(VALU_DEP_1) | instskip(NEXT) | instid1(VALU_DEP_1)
	v_fma_f32 v12, -v5, v8, v9
	v_fmac_f32_e32 v8, v12, v7
	s_delay_alu instid0(VALU_DEP_1) | instskip(NEXT) | instid1(VALU_DEP_1)
	v_fma_f32 v5, -v5, v8, v9
	v_div_fmas_f32 v5, v5, v7, v8
	v_bfrev_b32_e32 v7, 1
	s_delay_alu instid0(VALU_DEP_2) | instskip(NEXT) | instid1(VALU_DEP_1)
	v_div_fixup_f32 v3, v5, v11, v3
	v_minmax_num_f32 v3, v3, s5, 0xc3600000
	s_delay_alu instid0(VALU_DEP_1) | instskip(NEXT) | instid1(VALU_DEP_1)
	v_and_b32_e32 v5, 0x7fffffff, v3
	v_cmpx_gt_u32_e32 0x43800000, v5
	s_cbranch_execz .LBB10_105
; %bb.100:                              ;   in Loop: Header=BB10_81 Depth=1
	v_cmp_lt_u32_e32 vcc_lo, 0x3bffffff, v5
	s_mov_b32 s8, 0
                                        ; implicit-def: $vgpr5
	s_and_saveexec_b32 s9, vcc_lo
	s_delay_alu instid0(SALU_CYCLE_1)
	s_xor_b32 s9, exec_lo, s9
	s_cbranch_execnz .LBB10_184
; %bb.101:                              ;   in Loop: Header=BB10_81 Depth=1
	s_and_not1_saveexec_b32 s9, s9
	s_cbranch_execnz .LBB10_185
.LBB10_102:                             ;   in Loop: Header=BB10_81 Depth=1
	s_or_b32 exec_lo, exec_lo, s9
	v_mov_b32_e32 v7, 0
	s_and_saveexec_b32 s9, s8
.LBB10_103:                             ;   in Loop: Header=BB10_81 Depth=1
	v_and_b32_e32 v3, 0x80000000, v3
	s_delay_alu instid0(VALU_DEP_1)
	v_lshl_or_b32 v7, v5, 24, v3
.LBB10_104:                             ;   in Loop: Header=BB10_81 Depth=1
	s_or_b32 exec_lo, exec_lo, s9
.LBB10_105:                             ;   in Loop: Header=BB10_81 Depth=1
	s_delay_alu instid0(SALU_CYCLE_1) | instskip(SKIP_4) | instid1(VALU_DEP_2)
	s_or_b32 exec_lo, exec_lo, s7
	v_dual_add_nc_u32 v2, s16, v0 :: v_dual_bitop2_b32 v3, v2, v6 bitop3:0x54
	v_lshl_add_u64 v[8:9], v[0:1], 2, s[0:1]
	s_mov_b32 s8, -1
	s_mov_b32 s7, exec_lo
	v_or3_b32 v3, v3, v4, v7
	global_store_b32 v[8:9], v3, off
	s_wait_xcnt 0x0
	v_cmpx_gt_u32_e64 s28, v2
	s_cbranch_execz .LBB10_80
; %bb.106:                              ;   in Loop: Header=BB10_81 Depth=1
	s_clause 0x1
	global_load_b64 v[4:5], v2, s[10:11] scale_offset
	global_load_b64 v[6:7], v2, s[18:19] scale_offset
	s_mov_b32 s8, exec_lo
	s_wait_loadcnt 0x1
	v_fma_mixlo_f16 v3, v10, v4, 0 op_sel_hi:[0,1,0]
	s_wait_loadcnt 0x0
	s_delay_alu instid0(VALU_DEP_1) | instskip(NEXT) | instid1(VALU_DEP_1)
	v_mul_f16_e32 v3, v6, v3
	v_cvt_f32_f16_e32 v3, v3
	s_delay_alu instid0(VALU_DEP_1) | instskip(SKIP_1) | instid1(VALU_DEP_2)
	v_div_scale_f32 v8, null, v11, v11, v3
	v_div_scale_f32 v13, vcc_lo, v3, v11, v3
	v_rcp_f32_e32 v9, v8
	v_nop
	s_delay_alu instid0(TRANS32_DEP_1) | instskip(NEXT) | instid1(VALU_DEP_1)
	v_fma_f32 v12, -v8, v9, 1.0
	v_fmac_f32_e32 v9, v12, v9
	s_delay_alu instid0(VALU_DEP_1) | instskip(NEXT) | instid1(VALU_DEP_1)
	v_mul_f32_e32 v12, v13, v9
	v_fma_f32 v14, -v8, v12, v13
	s_delay_alu instid0(VALU_DEP_1) | instskip(NEXT) | instid1(VALU_DEP_1)
	v_fmac_f32_e32 v12, v14, v9
	v_fma_f32 v8, -v8, v12, v13
	s_delay_alu instid0(VALU_DEP_1) | instskip(NEXT) | instid1(VALU_DEP_1)
	v_div_fmas_f32 v8, v8, v9, v12
	v_div_fixup_f32 v3, v8, v11, v3
	v_mov_b32_e32 v8, 0x80
	s_delay_alu instid0(VALU_DEP_2) | instskip(NEXT) | instid1(VALU_DEP_1)
	v_minmax_num_f32 v3, v3, s5, 0xc3600000
	v_and_b32_e32 v9, 0x7fffffff, v3
	s_wait_xcnt 0x0
	s_delay_alu instid0(VALU_DEP_1)
	v_cmpx_gt_u32_e32 0x43800000, v9
	s_cbranch_execz .LBB10_112
; %bb.107:                              ;   in Loop: Header=BB10_81 Depth=1
	v_cmp_lt_u32_e32 vcc_lo, 0x3bffffff, v9
	s_mov_b32 s9, 0
                                        ; implicit-def: $vgpr9
	s_and_saveexec_b32 s12, vcc_lo
	s_delay_alu instid0(SALU_CYCLE_1)
	s_xor_b32 s12, exec_lo, s12
	s_cbranch_execnz .LBB10_186
; %bb.108:                              ;   in Loop: Header=BB10_81 Depth=1
	s_and_not1_saveexec_b32 s12, s12
	s_cbranch_execnz .LBB10_187
.LBB10_109:                             ;   in Loop: Header=BB10_81 Depth=1
	s_or_b32 exec_lo, exec_lo, s12
	v_mov_b32_e32 v8, 0
	s_and_saveexec_b32 s12, s9
.LBB10_110:                             ;   in Loop: Header=BB10_81 Depth=1
	v_lshrrev_b32_e32 v3, 24, v3
	s_delay_alu instid0(VALU_DEP_1)
	v_and_or_b32 v8, 0x80, v3, v9
.LBB10_111:                             ;   in Loop: Header=BB10_81 Depth=1
	s_or_b32 exec_lo, exec_lo, s12
.LBB10_112:                             ;   in Loop: Header=BB10_81 Depth=1
	s_delay_alu instid0(SALU_CYCLE_1) | instskip(SKIP_3) | instid1(VALU_DEP_1)
	s_or_b32 exec_lo, exec_lo, s8
	v_lshrrev_b32_e32 v3, 16, v6
	v_fma_mixlo_f16 v4, v10, v4, 0 op_sel:[0,1,0] op_sel_hi:[0,1,0]
	s_mov_b32 s8, exec_lo
	v_mul_f16_e32 v3, v3, v4
	s_delay_alu instid0(VALU_DEP_1) | instskip(NEXT) | instid1(VALU_DEP_1)
	v_cvt_f32_f16_e32 v3, v3
	v_div_scale_f32 v4, null, v11, v11, v3
	v_div_scale_f32 v12, vcc_lo, v3, v11, v3
	s_delay_alu instid0(VALU_DEP_2) | instskip(SKIP_1) | instid1(TRANS32_DEP_1)
	v_rcp_f32_e32 v6, v4
	v_nop
	v_fma_f32 v9, -v4, v6, 1.0
	s_delay_alu instid0(VALU_DEP_1) | instskip(NEXT) | instid1(VALU_DEP_1)
	v_fmac_f32_e32 v6, v9, v6
	v_mul_f32_e32 v9, v12, v6
	s_delay_alu instid0(VALU_DEP_1) | instskip(NEXT) | instid1(VALU_DEP_1)
	v_fma_f32 v13, -v4, v9, v12
	v_fmac_f32_e32 v9, v13, v6
	s_delay_alu instid0(VALU_DEP_1) | instskip(NEXT) | instid1(VALU_DEP_1)
	v_fma_f32 v4, -v4, v9, v12
	v_div_fmas_f32 v4, v4, v6, v9
	s_delay_alu instid0(VALU_DEP_1) | instskip(SKIP_1) | instid1(VALU_DEP_2)
	v_div_fixup_f32 v3, v4, v11, v3
	v_mov_b32_e32 v4, 0x8000
	v_minmax_num_f32 v3, v3, s5, 0xc3600000
	s_delay_alu instid0(VALU_DEP_1) | instskip(NEXT) | instid1(VALU_DEP_1)
	v_and_b32_e32 v6, 0x7fffffff, v3
	v_cmpx_gt_u32_e32 0x43800000, v6
	s_cbranch_execz .LBB10_118
; %bb.113:                              ;   in Loop: Header=BB10_81 Depth=1
	v_cmp_lt_u32_e32 vcc_lo, 0x3bffffff, v6
	s_mov_b32 s9, 0
                                        ; implicit-def: $vgpr6
	s_and_saveexec_b32 s12, vcc_lo
	s_delay_alu instid0(SALU_CYCLE_1)
	s_xor_b32 s12, exec_lo, s12
	s_cbranch_execnz .LBB10_188
; %bb.114:                              ;   in Loop: Header=BB10_81 Depth=1
	s_and_not1_saveexec_b32 s12, s12
	s_cbranch_execnz .LBB10_189
.LBB10_115:                             ;   in Loop: Header=BB10_81 Depth=1
	s_or_b32 exec_lo, exec_lo, s12
	v_mov_b32_e32 v4, 0
	s_and_saveexec_b32 s12, s9
.LBB10_116:                             ;   in Loop: Header=BB10_81 Depth=1
	v_lshrrev_b32_e32 v3, 24, v3
	s_delay_alu instid0(VALU_DEP_1) | instskip(NEXT) | instid1(VALU_DEP_1)
	v_and_or_b32 v3, 0x80, v3, v6
	v_lshlrev_b32_e32 v4, 8, v3
.LBB10_117:                             ;   in Loop: Header=BB10_81 Depth=1
	s_or_b32 exec_lo, exec_lo, s12
.LBB10_118:                             ;   in Loop: Header=BB10_81 Depth=1
	s_delay_alu instid0(SALU_CYCLE_1) | instskip(SKIP_2) | instid1(VALU_DEP_1)
	s_or_b32 exec_lo, exec_lo, s8
	v_fma_mixlo_f16 v3, v10, v5, 0 op_sel_hi:[0,1,0]
	s_mov_b32 s8, exec_lo
	v_mul_f16_e32 v3, v7, v3
	s_delay_alu instid0(VALU_DEP_1) | instskip(NEXT) | instid1(VALU_DEP_1)
	v_cvt_f32_f16_e32 v3, v3
	v_div_scale_f32 v6, null, v11, v11, v3
	v_div_scale_f32 v13, vcc_lo, v3, v11, v3
	s_delay_alu instid0(VALU_DEP_2) | instskip(SKIP_1) | instid1(TRANS32_DEP_1)
	v_rcp_f32_e32 v9, v6
	v_nop
	v_fma_f32 v12, -v6, v9, 1.0
	s_delay_alu instid0(VALU_DEP_1) | instskip(NEXT) | instid1(VALU_DEP_1)
	v_fmac_f32_e32 v9, v12, v9
	v_mul_f32_e32 v12, v13, v9
	s_delay_alu instid0(VALU_DEP_1) | instskip(NEXT) | instid1(VALU_DEP_1)
	v_fma_f32 v14, -v6, v12, v13
	v_fmac_f32_e32 v12, v14, v9
	s_delay_alu instid0(VALU_DEP_1) | instskip(NEXT) | instid1(VALU_DEP_1)
	v_fma_f32 v6, -v6, v12, v13
	v_div_fmas_f32 v6, v6, v9, v12
	s_delay_alu instid0(VALU_DEP_1) | instskip(SKIP_1) | instid1(VALU_DEP_2)
	v_div_fixup_f32 v3, v6, v11, v3
	v_mov_b32_e32 v6, 0x800000
	v_minmax_num_f32 v3, v3, s5, 0xc3600000
	s_delay_alu instid0(VALU_DEP_1) | instskip(NEXT) | instid1(VALU_DEP_1)
	v_and_b32_e32 v9, 0x7fffffff, v3
	v_cmpx_gt_u32_e32 0x43800000, v9
	s_cbranch_execz .LBB10_124
; %bb.119:                              ;   in Loop: Header=BB10_81 Depth=1
	v_cmp_lt_u32_e32 vcc_lo, 0x3bffffff, v9
	s_mov_b32 s9, 0
                                        ; implicit-def: $vgpr9
	s_and_saveexec_b32 s12, vcc_lo
	s_delay_alu instid0(SALU_CYCLE_1)
	s_xor_b32 s12, exec_lo, s12
	s_cbranch_execnz .LBB10_190
; %bb.120:                              ;   in Loop: Header=BB10_81 Depth=1
	s_and_not1_saveexec_b32 s12, s12
	s_cbranch_execnz .LBB10_191
.LBB10_121:                             ;   in Loop: Header=BB10_81 Depth=1
	s_or_b32 exec_lo, exec_lo, s12
	v_mov_b32_e32 v6, 0
	s_and_saveexec_b32 s12, s9
.LBB10_122:                             ;   in Loop: Header=BB10_81 Depth=1
	v_lshrrev_b32_e32 v3, 24, v3
	s_delay_alu instid0(VALU_DEP_1) | instskip(NEXT) | instid1(VALU_DEP_1)
	v_and_or_b32 v3, 0x80, v3, v9
	v_lshlrev_b32_e32 v6, 16, v3
.LBB10_123:                             ;   in Loop: Header=BB10_81 Depth=1
	s_or_b32 exec_lo, exec_lo, s12
.LBB10_124:                             ;   in Loop: Header=BB10_81 Depth=1
	s_delay_alu instid0(SALU_CYCLE_1) | instskip(SKIP_3) | instid1(VALU_DEP_1)
	s_or_b32 exec_lo, exec_lo, s8
	v_lshrrev_b32_e32 v3, 16, v7
	v_fma_mixlo_f16 v5, v10, v5, 0 op_sel:[0,1,0] op_sel_hi:[0,1,0]
	s_mov_b32 s8, exec_lo
	v_mul_f16_e32 v3, v3, v5
	s_delay_alu instid0(VALU_DEP_1) | instskip(NEXT) | instid1(VALU_DEP_1)
	v_cvt_f32_f16_e32 v3, v3
	v_div_scale_f32 v5, null, v11, v11, v3
	v_div_scale_f32 v12, vcc_lo, v3, v11, v3
	s_delay_alu instid0(VALU_DEP_2) | instskip(SKIP_1) | instid1(TRANS32_DEP_1)
	v_rcp_f32_e32 v7, v5
	v_nop
	v_fma_f32 v9, -v5, v7, 1.0
	s_delay_alu instid0(VALU_DEP_1) | instskip(NEXT) | instid1(VALU_DEP_1)
	v_fmac_f32_e32 v7, v9, v7
	v_mul_f32_e32 v9, v12, v7
	s_delay_alu instid0(VALU_DEP_1) | instskip(NEXT) | instid1(VALU_DEP_1)
	v_fma_f32 v13, -v5, v9, v12
	v_fmac_f32_e32 v9, v13, v7
	s_delay_alu instid0(VALU_DEP_1) | instskip(NEXT) | instid1(VALU_DEP_1)
	v_fma_f32 v5, -v5, v9, v12
	v_div_fmas_f32 v5, v5, v7, v9
	v_bfrev_b32_e32 v7, 1
	s_delay_alu instid0(VALU_DEP_2) | instskip(NEXT) | instid1(VALU_DEP_1)
	v_div_fixup_f32 v3, v5, v11, v3
	v_minmax_num_f32 v3, v3, s5, 0xc3600000
	s_delay_alu instid0(VALU_DEP_1) | instskip(NEXT) | instid1(VALU_DEP_1)
	v_and_b32_e32 v5, 0x7fffffff, v3
	v_cmpx_gt_u32_e32 0x43800000, v5
	s_cbranch_execz .LBB10_130
; %bb.125:                              ;   in Loop: Header=BB10_81 Depth=1
	v_cmp_lt_u32_e32 vcc_lo, 0x3bffffff, v5
	s_mov_b32 s9, 0
                                        ; implicit-def: $vgpr5
	s_and_saveexec_b32 s12, vcc_lo
	s_delay_alu instid0(SALU_CYCLE_1)
	s_xor_b32 s12, exec_lo, s12
	s_cbranch_execnz .LBB10_192
; %bb.126:                              ;   in Loop: Header=BB10_81 Depth=1
	s_and_not1_saveexec_b32 s12, s12
	s_cbranch_execnz .LBB10_193
.LBB10_127:                             ;   in Loop: Header=BB10_81 Depth=1
	s_or_b32 exec_lo, exec_lo, s12
	v_mov_b32_e32 v7, 0
	s_and_saveexec_b32 s12, s9
.LBB10_128:                             ;   in Loop: Header=BB10_81 Depth=1
	v_and_b32_e32 v3, 0x80000000, v3
	s_delay_alu instid0(VALU_DEP_1)
	v_lshl_or_b32 v7, v5, 24, v3
.LBB10_129:                             ;   in Loop: Header=BB10_81 Depth=1
	s_or_b32 exec_lo, exec_lo, s12
.LBB10_130:                             ;   in Loop: Header=BB10_81 Depth=1
	s_delay_alu instid0(SALU_CYCLE_1) | instskip(SKIP_4) | instid1(VALU_DEP_2)
	s_or_b32 exec_lo, exec_lo, s8
	v_dual_mov_b32 v3, v1 :: v_dual_bitop2_b32 v5, v4, v8 bitop3:0x54
	v_add_nc_u32_e32 v4, s2, v0
	s_mov_b32 s9, -1
	s_mov_b32 s8, exec_lo
	v_lshl_add_u64 v[8:9], v[2:3], 2, s[0:1]
	v_or3_b32 v3, v5, v6, v7
	global_store_b32 v[8:9], v3, off
	s_wait_xcnt 0x0
	v_cmpx_gt_u32_e64 s28, v4
	s_cbranch_execz .LBB10_79
; %bb.131:                              ;   in Loop: Header=BB10_81 Depth=1
	s_clause 0x1
	global_load_b64 v[6:7], v4, s[10:11] scale_offset
	global_load_b64 v[8:9], v4, s[18:19] scale_offset
	s_mov_b32 s9, exec_lo
	s_wait_loadcnt 0x1
	v_fma_mixlo_f16 v3, v10, v6, 0 op_sel_hi:[0,1,0]
	s_wait_loadcnt 0x0
	s_delay_alu instid0(VALU_DEP_1) | instskip(NEXT) | instid1(VALU_DEP_1)
	v_mul_f16_e32 v3, v8, v3
	v_cvt_f32_f16_e32 v3, v3
	s_delay_alu instid0(VALU_DEP_1) | instskip(SKIP_1) | instid1(VALU_DEP_2)
	v_div_scale_f32 v5, null, v11, v11, v3
	v_div_scale_f32 v14, vcc_lo, v3, v11, v3
	v_rcp_f32_e32 v12, v5
	v_nop
	s_delay_alu instid0(TRANS32_DEP_1) | instskip(NEXT) | instid1(VALU_DEP_1)
	v_fma_f32 v13, -v5, v12, 1.0
	v_fmac_f32_e32 v12, v13, v12
	s_delay_alu instid0(VALU_DEP_1) | instskip(NEXT) | instid1(VALU_DEP_1)
	v_mul_f32_e32 v13, v14, v12
	v_fma_f32 v15, -v5, v13, v14
	s_delay_alu instid0(VALU_DEP_1) | instskip(NEXT) | instid1(VALU_DEP_1)
	v_fmac_f32_e32 v13, v15, v12
	v_fma_f32 v5, -v5, v13, v14
	s_delay_alu instid0(VALU_DEP_1) | instskip(NEXT) | instid1(VALU_DEP_1)
	v_div_fmas_f32 v5, v5, v12, v13
	v_div_fixup_f32 v3, v5, v11, v3
	s_delay_alu instid0(VALU_DEP_1) | instskip(SKIP_1) | instid1(VALU_DEP_2)
	v_minmax_num_f32 v5, v3, s5, 0xc3600000
	v_mov_b32_e32 v3, 0x80
	v_and_b32_e32 v12, 0x7fffffff, v5
	s_wait_xcnt 0x0
	s_delay_alu instid0(VALU_DEP_1)
	v_cmpx_gt_u32_e32 0x43800000, v12
	s_cbranch_execz .LBB10_137
; %bb.132:                              ;   in Loop: Header=BB10_81 Depth=1
	v_cmp_lt_u32_e32 vcc_lo, 0x3bffffff, v12
	s_mov_b32 s12, 0
                                        ; implicit-def: $vgpr12
	s_and_saveexec_b32 s13, vcc_lo
	s_delay_alu instid0(SALU_CYCLE_1)
	s_xor_b32 s13, exec_lo, s13
	s_cbranch_execnz .LBB10_194
; %bb.133:                              ;   in Loop: Header=BB10_81 Depth=1
	s_and_not1_saveexec_b32 s13, s13
	s_cbranch_execnz .LBB10_195
.LBB10_134:                             ;   in Loop: Header=BB10_81 Depth=1
	s_or_b32 exec_lo, exec_lo, s13
	v_mov_b32_e32 v3, 0
	s_and_saveexec_b32 s13, s12
.LBB10_135:                             ;   in Loop: Header=BB10_81 Depth=1
	v_lshrrev_b32_e32 v3, 24, v5
	s_delay_alu instid0(VALU_DEP_1)
	v_and_or_b32 v3, 0x80, v3, v12
.LBB10_136:                             ;   in Loop: Header=BB10_81 Depth=1
	s_or_b32 exec_lo, exec_lo, s13
.LBB10_137:                             ;   in Loop: Header=BB10_81 Depth=1
	s_delay_alu instid0(SALU_CYCLE_1) | instskip(SKIP_3) | instid1(VALU_DEP_1)
	s_or_b32 exec_lo, exec_lo, s9
	v_lshrrev_b32_e32 v5, 16, v8
	v_fma_mixlo_f16 v6, v10, v6, 0 op_sel:[0,1,0] op_sel_hi:[0,1,0]
	s_mov_b32 s9, exec_lo
	v_mul_f16_e32 v5, v5, v6
	s_delay_alu instid0(VALU_DEP_1) | instskip(NEXT) | instid1(VALU_DEP_1)
	v_cvt_f32_f16_e32 v5, v5
	v_div_scale_f32 v6, null, v11, v11, v5
	v_div_scale_f32 v13, vcc_lo, v5, v11, v5
	s_delay_alu instid0(VALU_DEP_2) | instskip(SKIP_1) | instid1(TRANS32_DEP_1)
	v_rcp_f32_e32 v8, v6
	v_nop
	v_fma_f32 v12, -v6, v8, 1.0
	s_delay_alu instid0(VALU_DEP_1) | instskip(NEXT) | instid1(VALU_DEP_1)
	v_fmac_f32_e32 v8, v12, v8
	v_mul_f32_e32 v12, v13, v8
	s_delay_alu instid0(VALU_DEP_1) | instskip(NEXT) | instid1(VALU_DEP_1)
	v_fma_f32 v14, -v6, v12, v13
	v_fmac_f32_e32 v12, v14, v8
	s_delay_alu instid0(VALU_DEP_1) | instskip(NEXT) | instid1(VALU_DEP_1)
	v_fma_f32 v6, -v6, v12, v13
	v_div_fmas_f32 v6, v6, v8, v12
	s_delay_alu instid0(VALU_DEP_1) | instskip(SKIP_1) | instid1(VALU_DEP_2)
	v_div_fixup_f32 v5, v6, v11, v5
	v_mov_b32_e32 v6, 0x8000
	v_minmax_num_f32 v5, v5, s5, 0xc3600000
	s_delay_alu instid0(VALU_DEP_1) | instskip(NEXT) | instid1(VALU_DEP_1)
	v_and_b32_e32 v8, 0x7fffffff, v5
	v_cmpx_gt_u32_e32 0x43800000, v8
	s_cbranch_execz .LBB10_143
; %bb.138:                              ;   in Loop: Header=BB10_81 Depth=1
	v_cmp_lt_u32_e32 vcc_lo, 0x3bffffff, v8
	s_mov_b32 s12, 0
                                        ; implicit-def: $vgpr8
	s_and_saveexec_b32 s13, vcc_lo
	s_delay_alu instid0(SALU_CYCLE_1)
	s_xor_b32 s13, exec_lo, s13
	s_cbranch_execnz .LBB10_196
; %bb.139:                              ;   in Loop: Header=BB10_81 Depth=1
	s_and_not1_saveexec_b32 s13, s13
	s_cbranch_execnz .LBB10_197
.LBB10_140:                             ;   in Loop: Header=BB10_81 Depth=1
	s_or_b32 exec_lo, exec_lo, s13
	v_mov_b32_e32 v6, 0
	s_and_saveexec_b32 s13, s12
.LBB10_141:                             ;   in Loop: Header=BB10_81 Depth=1
	v_lshrrev_b32_e32 v5, 24, v5
	s_delay_alu instid0(VALU_DEP_1) | instskip(NEXT) | instid1(VALU_DEP_1)
	v_and_or_b32 v5, 0x80, v5, v8
	v_lshlrev_b32_e32 v6, 8, v5
.LBB10_142:                             ;   in Loop: Header=BB10_81 Depth=1
	s_or_b32 exec_lo, exec_lo, s13
.LBB10_143:                             ;   in Loop: Header=BB10_81 Depth=1
	s_delay_alu instid0(SALU_CYCLE_1) | instskip(SKIP_2) | instid1(VALU_DEP_1)
	s_or_b32 exec_lo, exec_lo, s9
	v_fma_mixlo_f16 v5, v10, v7, 0 op_sel_hi:[0,1,0]
	s_mov_b32 s9, exec_lo
	v_mul_f16_e32 v5, v9, v5
	s_delay_alu instid0(VALU_DEP_1) | instskip(NEXT) | instid1(VALU_DEP_1)
	v_cvt_f32_f16_e32 v5, v5
	v_div_scale_f32 v8, null, v11, v11, v5
	v_div_scale_f32 v14, vcc_lo, v5, v11, v5
	s_delay_alu instid0(VALU_DEP_2) | instskip(SKIP_1) | instid1(TRANS32_DEP_1)
	v_rcp_f32_e32 v12, v8
	v_nop
	v_fma_f32 v13, -v8, v12, 1.0
	s_delay_alu instid0(VALU_DEP_1) | instskip(NEXT) | instid1(VALU_DEP_1)
	v_fmac_f32_e32 v12, v13, v12
	v_mul_f32_e32 v13, v14, v12
	s_delay_alu instid0(VALU_DEP_1) | instskip(NEXT) | instid1(VALU_DEP_1)
	v_fma_f32 v15, -v8, v13, v14
	v_fmac_f32_e32 v13, v15, v12
	s_delay_alu instid0(VALU_DEP_1) | instskip(NEXT) | instid1(VALU_DEP_1)
	v_fma_f32 v8, -v8, v13, v14
	v_div_fmas_f32 v8, v8, v12, v13
	s_delay_alu instid0(VALU_DEP_1) | instskip(SKIP_1) | instid1(VALU_DEP_2)
	v_div_fixup_f32 v5, v8, v11, v5
	v_mov_b32_e32 v8, 0x800000
	v_minmax_num_f32 v5, v5, s5, 0xc3600000
	s_delay_alu instid0(VALU_DEP_1) | instskip(NEXT) | instid1(VALU_DEP_1)
	v_and_b32_e32 v12, 0x7fffffff, v5
	v_cmpx_gt_u32_e32 0x43800000, v12
	s_cbranch_execz .LBB10_149
; %bb.144:                              ;   in Loop: Header=BB10_81 Depth=1
	v_cmp_lt_u32_e32 vcc_lo, 0x3bffffff, v12
	s_mov_b32 s12, 0
                                        ; implicit-def: $vgpr12
	s_and_saveexec_b32 s13, vcc_lo
	s_delay_alu instid0(SALU_CYCLE_1)
	s_xor_b32 s13, exec_lo, s13
	s_cbranch_execnz .LBB10_198
; %bb.145:                              ;   in Loop: Header=BB10_81 Depth=1
	s_and_not1_saveexec_b32 s13, s13
	s_cbranch_execnz .LBB10_199
.LBB10_146:                             ;   in Loop: Header=BB10_81 Depth=1
	s_or_b32 exec_lo, exec_lo, s13
	v_mov_b32_e32 v8, 0
	s_and_saveexec_b32 s13, s12
.LBB10_147:                             ;   in Loop: Header=BB10_81 Depth=1
	v_lshrrev_b32_e32 v5, 24, v5
	s_delay_alu instid0(VALU_DEP_1) | instskip(NEXT) | instid1(VALU_DEP_1)
	v_and_or_b32 v5, 0x80, v5, v12
	v_lshlrev_b32_e32 v8, 16, v5
.LBB10_148:                             ;   in Loop: Header=BB10_81 Depth=1
	s_or_b32 exec_lo, exec_lo, s13
.LBB10_149:                             ;   in Loop: Header=BB10_81 Depth=1
	s_delay_alu instid0(SALU_CYCLE_1) | instskip(SKIP_3) | instid1(VALU_DEP_1)
	s_or_b32 exec_lo, exec_lo, s9
	v_lshrrev_b32_e32 v5, 16, v9
	v_fma_mixlo_f16 v7, v10, v7, 0 op_sel:[0,1,0] op_sel_hi:[0,1,0]
	s_mov_b32 s9, exec_lo
	v_mul_f16_e32 v5, v5, v7
	s_delay_alu instid0(VALU_DEP_1) | instskip(NEXT) | instid1(VALU_DEP_1)
	v_cvt_f32_f16_e32 v5, v5
	v_div_scale_f32 v7, null, v11, v11, v5
	v_div_scale_f32 v13, vcc_lo, v5, v11, v5
	s_delay_alu instid0(VALU_DEP_2) | instskip(SKIP_1) | instid1(TRANS32_DEP_1)
	v_rcp_f32_e32 v9, v7
	v_nop
	v_fma_f32 v12, -v7, v9, 1.0
	s_delay_alu instid0(VALU_DEP_1) | instskip(NEXT) | instid1(VALU_DEP_1)
	v_fmac_f32_e32 v9, v12, v9
	v_mul_f32_e32 v12, v13, v9
	s_delay_alu instid0(VALU_DEP_1) | instskip(NEXT) | instid1(VALU_DEP_1)
	v_fma_f32 v14, -v7, v12, v13
	v_fmac_f32_e32 v12, v14, v9
	s_delay_alu instid0(VALU_DEP_1) | instskip(NEXT) | instid1(VALU_DEP_1)
	v_fma_f32 v7, -v7, v12, v13
	v_div_fmas_f32 v7, v7, v9, v12
	v_bfrev_b32_e32 v9, 1
	s_delay_alu instid0(VALU_DEP_2) | instskip(NEXT) | instid1(VALU_DEP_1)
	v_div_fixup_f32 v5, v7, v11, v5
	v_minmax_num_f32 v5, v5, s5, 0xc3600000
	s_delay_alu instid0(VALU_DEP_1) | instskip(NEXT) | instid1(VALU_DEP_1)
	v_and_b32_e32 v7, 0x7fffffff, v5
	v_cmpx_gt_u32_e32 0x43800000, v7
	s_cbranch_execz .LBB10_155
; %bb.150:                              ;   in Loop: Header=BB10_81 Depth=1
	v_cmp_lt_u32_e32 vcc_lo, 0x3bffffff, v7
	s_mov_b32 s12, 0
                                        ; implicit-def: $vgpr7
	s_and_saveexec_b32 s13, vcc_lo
	s_delay_alu instid0(SALU_CYCLE_1)
	s_xor_b32 s13, exec_lo, s13
	s_cbranch_execnz .LBB10_200
; %bb.151:                              ;   in Loop: Header=BB10_81 Depth=1
	s_and_not1_saveexec_b32 s13, s13
	s_cbranch_execnz .LBB10_201
.LBB10_152:                             ;   in Loop: Header=BB10_81 Depth=1
	s_or_b32 exec_lo, exec_lo, s13
	v_mov_b32_e32 v9, 0
	s_and_saveexec_b32 s13, s12
.LBB10_153:                             ;   in Loop: Header=BB10_81 Depth=1
	v_and_b32_e32 v5, 0x80000000, v5
	s_delay_alu instid0(VALU_DEP_1)
	v_lshl_or_b32 v9, v7, 24, v5
.LBB10_154:                             ;   in Loop: Header=BB10_81 Depth=1
	s_or_b32 exec_lo, exec_lo, s13
.LBB10_155:                             ;   in Loop: Header=BB10_81 Depth=1
	s_delay_alu instid0(SALU_CYCLE_1) | instskip(SKIP_4) | instid1(VALU_DEP_2)
	s_or_b32 exec_lo, exec_lo, s9
	v_dual_mov_b32 v5, v1 :: v_dual_bitop2_b32 v3, v6, v3 bitop3:0x54
	v_add_nc_u32_e32 v0, s3, v0
	s_mov_b32 s12, -1
	s_mov_b32 s9, exec_lo
	v_lshl_add_u64 v[4:5], v[4:5], 2, s[0:1]
	v_or3_b32 v3, v3, v8, v9
	global_store_b32 v[4:5], v3, off
	s_wait_xcnt 0x0
	v_cmpx_gt_u32_e64 s28, v0
	s_cbranch_execz .LBB10_78
; %bb.156:                              ;   in Loop: Header=BB10_81 Depth=1
	s_clause 0x1
	global_load_b64 v[4:5], v0, s[10:11] scale_offset
	global_load_b64 v[6:7], v0, s[18:19] scale_offset
	s_mov_b32 s12, exec_lo
	s_wait_loadcnt 0x1
	v_fma_mixlo_f16 v3, v10, v4, 0 op_sel_hi:[0,1,0]
	s_wait_loadcnt 0x0
	s_delay_alu instid0(VALU_DEP_1) | instskip(NEXT) | instid1(VALU_DEP_1)
	v_mul_f16_e32 v3, v6, v3
	v_cvt_f32_f16_e32 v3, v3
	s_delay_alu instid0(VALU_DEP_1) | instskip(SKIP_1) | instid1(VALU_DEP_2)
	v_div_scale_f32 v8, null, v11, v11, v3
	v_div_scale_f32 v13, vcc_lo, v3, v11, v3
	v_rcp_f32_e32 v9, v8
	v_nop
	s_delay_alu instid0(TRANS32_DEP_1) | instskip(NEXT) | instid1(VALU_DEP_1)
	v_fma_f32 v12, -v8, v9, 1.0
	v_fmac_f32_e32 v9, v12, v9
	s_delay_alu instid0(VALU_DEP_1) | instskip(NEXT) | instid1(VALU_DEP_1)
	v_mul_f32_e32 v12, v13, v9
	v_fma_f32 v14, -v8, v12, v13
	s_delay_alu instid0(VALU_DEP_1) | instskip(NEXT) | instid1(VALU_DEP_1)
	v_fmac_f32_e32 v12, v14, v9
	v_fma_f32 v8, -v8, v12, v13
	s_delay_alu instid0(VALU_DEP_1) | instskip(NEXT) | instid1(VALU_DEP_1)
	v_div_fmas_f32 v8, v8, v9, v12
	v_div_fixup_f32 v3, v8, v11, v3
	s_delay_alu instid0(VALU_DEP_1) | instskip(SKIP_1) | instid1(VALU_DEP_2)
	v_minmax_num_f32 v8, v3, s5, 0xc3600000
	v_mov_b32_e32 v3, 0x80
	v_and_b32_e32 v9, 0x7fffffff, v8
	s_wait_xcnt 0x0
	s_delay_alu instid0(VALU_DEP_1)
	v_cmpx_gt_u32_e32 0x43800000, v9
	s_cbranch_execz .LBB10_162
; %bb.157:                              ;   in Loop: Header=BB10_81 Depth=1
	v_cmp_lt_u32_e32 vcc_lo, 0x3bffffff, v9
	s_mov_b32 s13, 0
                                        ; implicit-def: $vgpr9
	s_and_saveexec_b32 s14, vcc_lo
	s_delay_alu instid0(SALU_CYCLE_1)
	s_xor_b32 s14, exec_lo, s14
	s_cbranch_execnz .LBB10_202
; %bb.158:                              ;   in Loop: Header=BB10_81 Depth=1
	s_and_not1_saveexec_b32 s14, s14
	s_cbranch_execnz .LBB10_203
.LBB10_159:                             ;   in Loop: Header=BB10_81 Depth=1
	s_or_b32 exec_lo, exec_lo, s14
	v_mov_b32_e32 v3, 0
	s_and_saveexec_b32 s14, s13
.LBB10_160:                             ;   in Loop: Header=BB10_81 Depth=1
	v_lshrrev_b32_e32 v3, 24, v8
	s_delay_alu instid0(VALU_DEP_1)
	v_and_or_b32 v3, 0x80, v3, v9
.LBB10_161:                             ;   in Loop: Header=BB10_81 Depth=1
	s_or_b32 exec_lo, exec_lo, s14
.LBB10_162:                             ;   in Loop: Header=BB10_81 Depth=1
	s_delay_alu instid0(SALU_CYCLE_1) | instskip(SKIP_3) | instid1(VALU_DEP_1)
	s_or_b32 exec_lo, exec_lo, s12
	v_lshrrev_b32_e32 v6, 16, v6
	v_fma_mixlo_f16 v4, v10, v4, 0 op_sel:[0,1,0] op_sel_hi:[0,1,0]
	s_mov_b32 s12, exec_lo
	v_mul_f16_e32 v4, v6, v4
	s_delay_alu instid0(VALU_DEP_1) | instskip(NEXT) | instid1(VALU_DEP_1)
	v_cvt_f32_f16_e32 v4, v4
	v_div_scale_f32 v6, null, v11, v11, v4
	v_div_scale_f32 v12, vcc_lo, v4, v11, v4
	s_delay_alu instid0(VALU_DEP_2) | instskip(SKIP_1) | instid1(TRANS32_DEP_1)
	v_rcp_f32_e32 v8, v6
	v_nop
	v_fma_f32 v9, -v6, v8, 1.0
	s_delay_alu instid0(VALU_DEP_1) | instskip(NEXT) | instid1(VALU_DEP_1)
	v_fmac_f32_e32 v8, v9, v8
	v_mul_f32_e32 v9, v12, v8
	s_delay_alu instid0(VALU_DEP_1) | instskip(NEXT) | instid1(VALU_DEP_1)
	v_fma_f32 v13, -v6, v9, v12
	v_fmac_f32_e32 v9, v13, v8
	s_delay_alu instid0(VALU_DEP_1) | instskip(NEXT) | instid1(VALU_DEP_1)
	v_fma_f32 v6, -v6, v9, v12
	v_div_fmas_f32 v6, v6, v8, v9
	s_delay_alu instid0(VALU_DEP_1) | instskip(NEXT) | instid1(VALU_DEP_1)
	v_div_fixup_f32 v4, v6, v11, v4
	v_minmax_num_f32 v6, v4, s5, 0xc3600000
	v_mov_b32_e32 v4, 0x8000
	s_delay_alu instid0(VALU_DEP_2) | instskip(NEXT) | instid1(VALU_DEP_1)
	v_and_b32_e32 v8, 0x7fffffff, v6
	v_cmpx_gt_u32_e32 0x43800000, v8
	s_cbranch_execz .LBB10_168
; %bb.163:                              ;   in Loop: Header=BB10_81 Depth=1
	v_cmp_lt_u32_e32 vcc_lo, 0x3bffffff, v8
	s_mov_b32 s13, 0
                                        ; implicit-def: $vgpr8
	s_and_saveexec_b32 s14, vcc_lo
	s_delay_alu instid0(SALU_CYCLE_1)
	s_xor_b32 s14, exec_lo, s14
	s_cbranch_execnz .LBB10_204
; %bb.164:                              ;   in Loop: Header=BB10_81 Depth=1
	s_and_not1_saveexec_b32 s14, s14
	s_cbranch_execnz .LBB10_205
.LBB10_165:                             ;   in Loop: Header=BB10_81 Depth=1
	s_or_b32 exec_lo, exec_lo, s14
	v_mov_b32_e32 v4, 0
	s_and_saveexec_b32 s14, s13
.LBB10_166:                             ;   in Loop: Header=BB10_81 Depth=1
	v_lshrrev_b32_e32 v4, 24, v6
	s_delay_alu instid0(VALU_DEP_1) | instskip(NEXT) | instid1(VALU_DEP_1)
	v_and_or_b32 v4, 0x80, v4, v8
	v_lshlrev_b32_e32 v4, 8, v4
.LBB10_167:                             ;   in Loop: Header=BB10_81 Depth=1
	s_or_b32 exec_lo, exec_lo, s14
.LBB10_168:                             ;   in Loop: Header=BB10_81 Depth=1
	s_delay_alu instid0(SALU_CYCLE_1) | instskip(SKIP_2) | instid1(VALU_DEP_1)
	s_or_b32 exec_lo, exec_lo, s12
	v_fma_mixlo_f16 v6, v10, v5, 0 op_sel_hi:[0,1,0]
	s_mov_b32 s12, exec_lo
	v_mul_f16_e32 v6, v7, v6
	s_delay_alu instid0(VALU_DEP_1) | instskip(NEXT) | instid1(VALU_DEP_1)
	v_cvt_f32_f16_e32 v6, v6
	v_div_scale_f32 v8, null, v11, v11, v6
	v_div_scale_f32 v13, vcc_lo, v6, v11, v6
	s_delay_alu instid0(VALU_DEP_2) | instskip(SKIP_1) | instid1(TRANS32_DEP_1)
	v_rcp_f32_e32 v9, v8
	v_nop
	v_fma_f32 v12, -v8, v9, 1.0
	s_delay_alu instid0(VALU_DEP_1) | instskip(NEXT) | instid1(VALU_DEP_1)
	v_fmac_f32_e32 v9, v12, v9
	v_mul_f32_e32 v12, v13, v9
	s_delay_alu instid0(VALU_DEP_1) | instskip(NEXT) | instid1(VALU_DEP_1)
	v_fma_f32 v14, -v8, v12, v13
	v_fmac_f32_e32 v12, v14, v9
	s_delay_alu instid0(VALU_DEP_1) | instskip(NEXT) | instid1(VALU_DEP_1)
	v_fma_f32 v8, -v8, v12, v13
	v_div_fmas_f32 v8, v8, v9, v12
	s_delay_alu instid0(VALU_DEP_1) | instskip(NEXT) | instid1(VALU_DEP_1)
	v_div_fixup_f32 v6, v8, v11, v6
	v_minmax_num_f32 v8, v6, s5, 0xc3600000
	v_mov_b32_e32 v6, 0x800000
	s_delay_alu instid0(VALU_DEP_2) | instskip(NEXT) | instid1(VALU_DEP_1)
	v_and_b32_e32 v9, 0x7fffffff, v8
	v_cmpx_gt_u32_e32 0x43800000, v9
	s_cbranch_execz .LBB10_174
; %bb.169:                              ;   in Loop: Header=BB10_81 Depth=1
	v_cmp_lt_u32_e32 vcc_lo, 0x3bffffff, v9
	s_mov_b32 s13, 0
                                        ; implicit-def: $vgpr9
	s_and_saveexec_b32 s14, vcc_lo
	s_delay_alu instid0(SALU_CYCLE_1)
	s_xor_b32 s14, exec_lo, s14
	s_cbranch_execnz .LBB10_206
; %bb.170:                              ;   in Loop: Header=BB10_81 Depth=1
	s_and_not1_saveexec_b32 s14, s14
	s_cbranch_execnz .LBB10_207
.LBB10_171:                             ;   in Loop: Header=BB10_81 Depth=1
	s_or_b32 exec_lo, exec_lo, s14
	v_mov_b32_e32 v6, 0
	s_and_saveexec_b32 s14, s13
.LBB10_172:                             ;   in Loop: Header=BB10_81 Depth=1
	v_lshrrev_b32_e32 v6, 24, v8
	s_delay_alu instid0(VALU_DEP_1) | instskip(NEXT) | instid1(VALU_DEP_1)
	v_and_or_b32 v6, 0x80, v6, v9
	v_lshlrev_b32_e32 v6, 16, v6
.LBB10_173:                             ;   in Loop: Header=BB10_81 Depth=1
	s_or_b32 exec_lo, exec_lo, s14
.LBB10_174:                             ;   in Loop: Header=BB10_81 Depth=1
	s_delay_alu instid0(SALU_CYCLE_1) | instskip(SKIP_3) | instid1(VALU_DEP_1)
	s_or_b32 exec_lo, exec_lo, s12
	v_lshrrev_b32_e32 v7, 16, v7
	v_fma_mixlo_f16 v5, v10, v5, 0 op_sel:[0,1,0] op_sel_hi:[0,1,0]
	s_mov_b32 s12, exec_lo
	v_mul_f16_e32 v5, v7, v5
	s_delay_alu instid0(VALU_DEP_1) | instskip(NEXT) | instid1(VALU_DEP_1)
	v_cvt_f32_f16_e32 v5, v5
	v_div_scale_f32 v7, null, v11, v11, v5
	v_div_scale_f32 v12, vcc_lo, v5, v11, v5
	s_delay_alu instid0(VALU_DEP_2) | instskip(SKIP_1) | instid1(TRANS32_DEP_1)
	v_rcp_f32_e32 v8, v7
	v_nop
	v_fma_f32 v9, -v7, v8, 1.0
	s_delay_alu instid0(VALU_DEP_1) | instskip(NEXT) | instid1(VALU_DEP_1)
	v_fmac_f32_e32 v8, v9, v8
	v_mul_f32_e32 v9, v12, v8
	s_delay_alu instid0(VALU_DEP_1) | instskip(NEXT) | instid1(VALU_DEP_1)
	v_fma_f32 v13, -v7, v9, v12
	v_fmac_f32_e32 v9, v13, v8
	s_delay_alu instid0(VALU_DEP_1) | instskip(NEXT) | instid1(VALU_DEP_1)
	v_fma_f32 v7, -v7, v9, v12
	v_div_fmas_f32 v7, v7, v8, v9
	v_bfrev_b32_e32 v8, 1
	s_delay_alu instid0(VALU_DEP_2) | instskip(NEXT) | instid1(VALU_DEP_1)
	v_div_fixup_f32 v5, v7, v11, v5
	v_minmax_num_f32 v5, v5, s5, 0xc3600000
	s_delay_alu instid0(VALU_DEP_1) | instskip(NEXT) | instid1(VALU_DEP_1)
	v_and_b32_e32 v7, 0x7fffffff, v5
	v_cmpx_gt_u32_e32 0x43800000, v7
	s_cbranch_execz .LBB10_77
; %bb.175:                              ;   in Loop: Header=BB10_81 Depth=1
	v_cmp_lt_u32_e32 vcc_lo, 0x3bffffff, v7
	s_mov_b32 s13, 0
                                        ; implicit-def: $vgpr7
	s_and_saveexec_b32 s14, vcc_lo
	s_delay_alu instid0(SALU_CYCLE_1)
	s_xor_b32 s14, exec_lo, s14
	s_cbranch_execnz .LBB10_208
; %bb.176:                              ;   in Loop: Header=BB10_81 Depth=1
	s_and_not1_saveexec_b32 s14, s14
	s_cbranch_execnz .LBB10_209
.LBB10_177:                             ;   in Loop: Header=BB10_81 Depth=1
	s_or_b32 exec_lo, exec_lo, s14
	v_mov_b32_e32 v8, 0
	s_and_saveexec_b32 s14, s13
	s_cbranch_execz .LBB10_76
	s_branch .LBB10_210
.LBB10_178:                             ;   in Loop: Header=BB10_81 Depth=1
	v_bfe_u32 v6, v7, 20, 1
	s_mov_b32 s8, exec_lo
	s_delay_alu instid0(VALU_DEP_1) | instskip(NEXT) | instid1(VALU_DEP_1)
	v_add3_u32 v6, v7, v6, 0x487ffff
	v_bfe_u32 v8, v6, 20, 8
	s_and_not1_saveexec_b32 s9, s9
	s_cbranch_execz .LBB10_84
.LBB10_179:                             ;   in Loop: Header=BB10_81 Depth=1
	v_add_f32_e64 v6, 0x46000000, |v7|
	s_and_not1_b32 s8, s8, exec_lo
	s_delay_alu instid0(VALU_DEP_1) | instskip(NEXT) | instid1(VALU_DEP_1)
	v_and_b32_e32 v8, 0xff, v6
	v_cmp_ne_u32_e32 vcc_lo, 0, v8
	s_and_b32 s12, vcc_lo, exec_lo
	s_delay_alu instid0(SALU_CYCLE_1)
	s_or_b32 s8, s8, s12
	s_or_b32 exec_lo, exec_lo, s9
	v_mov_b32_e32 v6, 0
	s_and_saveexec_b32 s9, s8
	s_cbranch_execnz .LBB10_85
	s_branch .LBB10_86
.LBB10_180:                             ;   in Loop: Header=BB10_81 Depth=1
	v_bfe_u32 v2, v4, 20, 1
	s_mov_b32 s8, exec_lo
	s_delay_alu instid0(VALU_DEP_1) | instskip(NEXT) | instid1(VALU_DEP_1)
	v_add3_u32 v2, v4, v2, 0x487ffff
	v_bfe_u32 v7, v2, 20, 8
	s_and_not1_saveexec_b32 s9, s9
	s_cbranch_execz .LBB10_90
.LBB10_181:                             ;   in Loop: Header=BB10_81 Depth=1
	v_add_f32_e64 v2, 0x46000000, |v4|
	s_and_not1_b32 s8, s8, exec_lo
	s_delay_alu instid0(VALU_DEP_1) | instskip(NEXT) | instid1(VALU_DEP_1)
	v_and_b32_e32 v7, 0xff, v2
	v_cmp_ne_u32_e32 vcc_lo, 0, v7
	s_and_b32 s12, vcc_lo, exec_lo
	s_delay_alu instid0(SALU_CYCLE_1)
	s_or_b32 s8, s8, s12
	s_or_b32 exec_lo, exec_lo, s9
	v_mov_b32_e32 v2, 0
	s_and_saveexec_b32 s9, s8
	s_cbranch_execnz .LBB10_91
	s_branch .LBB10_92
.LBB10_182:                             ;   in Loop: Header=BB10_81 Depth=1
	v_bfe_u32 v4, v7, 20, 1
	s_mov_b32 s8, exec_lo
	s_delay_alu instid0(VALU_DEP_1) | instskip(NEXT) | instid1(VALU_DEP_1)
	v_add3_u32 v4, v7, v4, 0x487ffff
	v_bfe_u32 v8, v4, 20, 8
	s_and_not1_saveexec_b32 s9, s9
	s_cbranch_execz .LBB10_96
.LBB10_183:                             ;   in Loop: Header=BB10_81 Depth=1
	v_add_f32_e64 v4, 0x46000000, |v7|
	s_and_not1_b32 s8, s8, exec_lo
	s_delay_alu instid0(VALU_DEP_1) | instskip(NEXT) | instid1(VALU_DEP_1)
	v_and_b32_e32 v8, 0xff, v4
	v_cmp_ne_u32_e32 vcc_lo, 0, v8
	s_and_b32 s12, vcc_lo, exec_lo
	s_delay_alu instid0(SALU_CYCLE_1)
	s_or_b32 s8, s8, s12
	s_or_b32 exec_lo, exec_lo, s9
	v_mov_b32_e32 v4, 0
	s_and_saveexec_b32 s9, s8
	s_cbranch_execnz .LBB10_97
	s_branch .LBB10_98
.LBB10_184:                             ;   in Loop: Header=BB10_81 Depth=1
	v_bfe_u32 v5, v3, 20, 1
	s_mov_b32 s8, exec_lo
	s_delay_alu instid0(VALU_DEP_1) | instskip(NEXT) | instid1(VALU_DEP_1)
	v_add3_u32 v5, v3, v5, 0x487ffff
	v_bfe_u32 v5, v5, 20, 8
	s_and_not1_saveexec_b32 s9, s9
	s_cbranch_execz .LBB10_102
.LBB10_185:                             ;   in Loop: Header=BB10_81 Depth=1
	v_add_f32_e64 v5, 0x46000000, |v3|
	s_and_not1_b32 s8, s8, exec_lo
	s_delay_alu instid0(VALU_DEP_1) | instskip(NEXT) | instid1(VALU_DEP_1)
	v_and_b32_e32 v5, 0xff, v5
	v_cmp_ne_u32_e32 vcc_lo, 0, v5
	s_and_b32 s12, vcc_lo, exec_lo
	s_delay_alu instid0(SALU_CYCLE_1)
	s_or_b32 s8, s8, s12
	s_or_b32 exec_lo, exec_lo, s9
	v_mov_b32_e32 v7, 0
	s_and_saveexec_b32 s9, s8
	s_cbranch_execnz .LBB10_103
	s_branch .LBB10_104
.LBB10_186:                             ;   in Loop: Header=BB10_81 Depth=1
	v_bfe_u32 v8, v3, 20, 1
	s_mov_b32 s9, exec_lo
	s_delay_alu instid0(VALU_DEP_1) | instskip(NEXT) | instid1(VALU_DEP_1)
	v_add3_u32 v8, v3, v8, 0x487ffff
	v_bfe_u32 v9, v8, 20, 8
	s_and_not1_saveexec_b32 s12, s12
	s_cbranch_execz .LBB10_109
.LBB10_187:                             ;   in Loop: Header=BB10_81 Depth=1
	v_add_f32_e64 v8, 0x46000000, |v3|
	s_and_not1_b32 s9, s9, exec_lo
	s_delay_alu instid0(VALU_DEP_1) | instskip(NEXT) | instid1(VALU_DEP_1)
	v_and_b32_e32 v9, 0xff, v8
	v_cmp_ne_u32_e32 vcc_lo, 0, v9
	s_and_b32 s13, vcc_lo, exec_lo
	s_delay_alu instid0(SALU_CYCLE_1)
	s_or_b32 s9, s9, s13
	s_or_b32 exec_lo, exec_lo, s12
	v_mov_b32_e32 v8, 0
	s_and_saveexec_b32 s12, s9
	s_cbranch_execnz .LBB10_110
	s_branch .LBB10_111
.LBB10_188:                             ;   in Loop: Header=BB10_81 Depth=1
	v_bfe_u32 v4, v3, 20, 1
	s_mov_b32 s9, exec_lo
	s_delay_alu instid0(VALU_DEP_1) | instskip(NEXT) | instid1(VALU_DEP_1)
	v_add3_u32 v4, v3, v4, 0x487ffff
	v_bfe_u32 v6, v4, 20, 8
	s_and_not1_saveexec_b32 s12, s12
	s_cbranch_execz .LBB10_115
.LBB10_189:                             ;   in Loop: Header=BB10_81 Depth=1
	v_add_f32_e64 v4, 0x46000000, |v3|
	s_and_not1_b32 s9, s9, exec_lo
	s_delay_alu instid0(VALU_DEP_1) | instskip(NEXT) | instid1(VALU_DEP_1)
	v_and_b32_e32 v6, 0xff, v4
	v_cmp_ne_u32_e32 vcc_lo, 0, v6
	s_and_b32 s13, vcc_lo, exec_lo
	s_delay_alu instid0(SALU_CYCLE_1)
	s_or_b32 s9, s9, s13
	s_or_b32 exec_lo, exec_lo, s12
	v_mov_b32_e32 v4, 0
	s_and_saveexec_b32 s12, s9
	s_cbranch_execnz .LBB10_116
	s_branch .LBB10_117
.LBB10_190:                             ;   in Loop: Header=BB10_81 Depth=1
	v_bfe_u32 v6, v3, 20, 1
	s_mov_b32 s9, exec_lo
	s_delay_alu instid0(VALU_DEP_1) | instskip(NEXT) | instid1(VALU_DEP_1)
	v_add3_u32 v6, v3, v6, 0x487ffff
	v_bfe_u32 v9, v6, 20, 8
	s_and_not1_saveexec_b32 s12, s12
	s_cbranch_execz .LBB10_121
.LBB10_191:                             ;   in Loop: Header=BB10_81 Depth=1
	v_add_f32_e64 v6, 0x46000000, |v3|
	s_and_not1_b32 s9, s9, exec_lo
	s_delay_alu instid0(VALU_DEP_1) | instskip(NEXT) | instid1(VALU_DEP_1)
	v_and_b32_e32 v9, 0xff, v6
	v_cmp_ne_u32_e32 vcc_lo, 0, v9
	s_and_b32 s13, vcc_lo, exec_lo
	s_delay_alu instid0(SALU_CYCLE_1)
	s_or_b32 s9, s9, s13
	s_or_b32 exec_lo, exec_lo, s12
	v_mov_b32_e32 v6, 0
	s_and_saveexec_b32 s12, s9
	s_cbranch_execnz .LBB10_122
	s_branch .LBB10_123
.LBB10_192:                             ;   in Loop: Header=BB10_81 Depth=1
	v_bfe_u32 v5, v3, 20, 1
	s_mov_b32 s9, exec_lo
	s_delay_alu instid0(VALU_DEP_1) | instskip(NEXT) | instid1(VALU_DEP_1)
	v_add3_u32 v5, v3, v5, 0x487ffff
	v_bfe_u32 v5, v5, 20, 8
	s_and_not1_saveexec_b32 s12, s12
	s_cbranch_execz .LBB10_127
.LBB10_193:                             ;   in Loop: Header=BB10_81 Depth=1
	v_add_f32_e64 v5, 0x46000000, |v3|
	s_and_not1_b32 s9, s9, exec_lo
	s_delay_alu instid0(VALU_DEP_1) | instskip(NEXT) | instid1(VALU_DEP_1)
	v_and_b32_e32 v5, 0xff, v5
	v_cmp_ne_u32_e32 vcc_lo, 0, v5
	s_and_b32 s13, vcc_lo, exec_lo
	s_delay_alu instid0(SALU_CYCLE_1)
	s_or_b32 s9, s9, s13
	s_or_b32 exec_lo, exec_lo, s12
	v_mov_b32_e32 v7, 0
	s_and_saveexec_b32 s12, s9
	s_cbranch_execnz .LBB10_128
	s_branch .LBB10_129
.LBB10_194:                             ;   in Loop: Header=BB10_81 Depth=1
	v_bfe_u32 v3, v5, 20, 1
	s_mov_b32 s12, exec_lo
	s_delay_alu instid0(VALU_DEP_1) | instskip(NEXT) | instid1(VALU_DEP_1)
	v_add3_u32 v3, v5, v3, 0x487ffff
	v_bfe_u32 v12, v3, 20, 8
	s_and_not1_saveexec_b32 s13, s13
	s_cbranch_execz .LBB10_134
.LBB10_195:                             ;   in Loop: Header=BB10_81 Depth=1
	v_add_f32_e64 v3, 0x46000000, |v5|
	s_and_not1_b32 s12, s12, exec_lo
	s_delay_alu instid0(VALU_DEP_1) | instskip(NEXT) | instid1(VALU_DEP_1)
	v_and_b32_e32 v12, 0xff, v3
	v_cmp_ne_u32_e32 vcc_lo, 0, v12
	s_and_b32 s14, vcc_lo, exec_lo
	s_delay_alu instid0(SALU_CYCLE_1)
	s_or_b32 s12, s12, s14
	s_or_b32 exec_lo, exec_lo, s13
	v_mov_b32_e32 v3, 0
	s_and_saveexec_b32 s13, s12
	s_cbranch_execnz .LBB10_135
	s_branch .LBB10_136
.LBB10_196:                             ;   in Loop: Header=BB10_81 Depth=1
	v_bfe_u32 v6, v5, 20, 1
	s_mov_b32 s12, exec_lo
	s_delay_alu instid0(VALU_DEP_1) | instskip(NEXT) | instid1(VALU_DEP_1)
	v_add3_u32 v6, v5, v6, 0x487ffff
	v_bfe_u32 v8, v6, 20, 8
	s_and_not1_saveexec_b32 s13, s13
	s_cbranch_execz .LBB10_140
.LBB10_197:                             ;   in Loop: Header=BB10_81 Depth=1
	v_add_f32_e64 v6, 0x46000000, |v5|
	s_and_not1_b32 s12, s12, exec_lo
	s_delay_alu instid0(VALU_DEP_1) | instskip(NEXT) | instid1(VALU_DEP_1)
	v_and_b32_e32 v8, 0xff, v6
	v_cmp_ne_u32_e32 vcc_lo, 0, v8
	s_and_b32 s14, vcc_lo, exec_lo
	s_delay_alu instid0(SALU_CYCLE_1)
	s_or_b32 s12, s12, s14
	s_or_b32 exec_lo, exec_lo, s13
	v_mov_b32_e32 v6, 0
	s_and_saveexec_b32 s13, s12
	s_cbranch_execnz .LBB10_141
	s_branch .LBB10_142
.LBB10_198:                             ;   in Loop: Header=BB10_81 Depth=1
	v_bfe_u32 v8, v5, 20, 1
	s_mov_b32 s12, exec_lo
	s_delay_alu instid0(VALU_DEP_1) | instskip(NEXT) | instid1(VALU_DEP_1)
	v_add3_u32 v8, v5, v8, 0x487ffff
	v_bfe_u32 v12, v8, 20, 8
	s_and_not1_saveexec_b32 s13, s13
	s_cbranch_execz .LBB10_146
.LBB10_199:                             ;   in Loop: Header=BB10_81 Depth=1
	v_add_f32_e64 v8, 0x46000000, |v5|
	s_and_not1_b32 s12, s12, exec_lo
	s_delay_alu instid0(VALU_DEP_1) | instskip(NEXT) | instid1(VALU_DEP_1)
	v_and_b32_e32 v12, 0xff, v8
	v_cmp_ne_u32_e32 vcc_lo, 0, v12
	s_and_b32 s14, vcc_lo, exec_lo
	s_delay_alu instid0(SALU_CYCLE_1)
	s_or_b32 s12, s12, s14
	s_or_b32 exec_lo, exec_lo, s13
	v_mov_b32_e32 v8, 0
	s_and_saveexec_b32 s13, s12
	s_cbranch_execnz .LBB10_147
	s_branch .LBB10_148
.LBB10_200:                             ;   in Loop: Header=BB10_81 Depth=1
	v_bfe_u32 v7, v5, 20, 1
	s_mov_b32 s12, exec_lo
	s_delay_alu instid0(VALU_DEP_1) | instskip(NEXT) | instid1(VALU_DEP_1)
	v_add3_u32 v7, v5, v7, 0x487ffff
	v_bfe_u32 v7, v7, 20, 8
	s_and_not1_saveexec_b32 s13, s13
	s_cbranch_execz .LBB10_152
.LBB10_201:                             ;   in Loop: Header=BB10_81 Depth=1
	v_add_f32_e64 v7, 0x46000000, |v5|
	s_and_not1_b32 s12, s12, exec_lo
	s_delay_alu instid0(VALU_DEP_1) | instskip(NEXT) | instid1(VALU_DEP_1)
	v_and_b32_e32 v7, 0xff, v7
	v_cmp_ne_u32_e32 vcc_lo, 0, v7
	s_and_b32 s14, vcc_lo, exec_lo
	s_delay_alu instid0(SALU_CYCLE_1)
	s_or_b32 s12, s12, s14
	s_or_b32 exec_lo, exec_lo, s13
	v_mov_b32_e32 v9, 0
	s_and_saveexec_b32 s13, s12
	s_cbranch_execnz .LBB10_153
	s_branch .LBB10_154
.LBB10_202:                             ;   in Loop: Header=BB10_81 Depth=1
	v_bfe_u32 v3, v8, 20, 1
	s_mov_b32 s13, exec_lo
	s_delay_alu instid0(VALU_DEP_1) | instskip(NEXT) | instid1(VALU_DEP_1)
	v_add3_u32 v3, v8, v3, 0x487ffff
	v_bfe_u32 v9, v3, 20, 8
	s_and_not1_saveexec_b32 s14, s14
	s_cbranch_execz .LBB10_159
.LBB10_203:                             ;   in Loop: Header=BB10_81 Depth=1
	v_add_f32_e64 v3, 0x46000000, |v8|
	s_and_not1_b32 s13, s13, exec_lo
	s_delay_alu instid0(VALU_DEP_1) | instskip(NEXT) | instid1(VALU_DEP_1)
	v_and_b32_e32 v9, 0xff, v3
	v_cmp_ne_u32_e32 vcc_lo, 0, v9
	s_and_b32 s15, vcc_lo, exec_lo
	s_delay_alu instid0(SALU_CYCLE_1)
	s_or_b32 s13, s13, s15
	s_or_b32 exec_lo, exec_lo, s14
	v_mov_b32_e32 v3, 0
	s_and_saveexec_b32 s14, s13
	s_cbranch_execnz .LBB10_160
	s_branch .LBB10_161
.LBB10_204:                             ;   in Loop: Header=BB10_81 Depth=1
	v_bfe_u32 v4, v6, 20, 1
	s_mov_b32 s13, exec_lo
	s_delay_alu instid0(VALU_DEP_1) | instskip(NEXT) | instid1(VALU_DEP_1)
	v_add3_u32 v4, v6, v4, 0x487ffff
	v_bfe_u32 v8, v4, 20, 8
	s_and_not1_saveexec_b32 s14, s14
	s_cbranch_execz .LBB10_165
.LBB10_205:                             ;   in Loop: Header=BB10_81 Depth=1
	v_add_f32_e64 v4, 0x46000000, |v6|
	s_and_not1_b32 s13, s13, exec_lo
	s_delay_alu instid0(VALU_DEP_1) | instskip(NEXT) | instid1(VALU_DEP_1)
	v_and_b32_e32 v8, 0xff, v4
	v_cmp_ne_u32_e32 vcc_lo, 0, v8
	s_and_b32 s15, vcc_lo, exec_lo
	s_delay_alu instid0(SALU_CYCLE_1)
	s_or_b32 s13, s13, s15
	s_or_b32 exec_lo, exec_lo, s14
	v_mov_b32_e32 v4, 0
	s_and_saveexec_b32 s14, s13
	s_cbranch_execnz .LBB10_166
	s_branch .LBB10_167
.LBB10_206:                             ;   in Loop: Header=BB10_81 Depth=1
	v_bfe_u32 v6, v8, 20, 1
	s_mov_b32 s13, exec_lo
	s_delay_alu instid0(VALU_DEP_1) | instskip(NEXT) | instid1(VALU_DEP_1)
	v_add3_u32 v6, v8, v6, 0x487ffff
	v_bfe_u32 v9, v6, 20, 8
	s_and_not1_saveexec_b32 s14, s14
	s_cbranch_execz .LBB10_171
.LBB10_207:                             ;   in Loop: Header=BB10_81 Depth=1
	v_add_f32_e64 v6, 0x46000000, |v8|
	s_and_not1_b32 s13, s13, exec_lo
	s_delay_alu instid0(VALU_DEP_1) | instskip(NEXT) | instid1(VALU_DEP_1)
	v_and_b32_e32 v9, 0xff, v6
	v_cmp_ne_u32_e32 vcc_lo, 0, v9
	s_and_b32 s15, vcc_lo, exec_lo
	s_delay_alu instid0(SALU_CYCLE_1)
	s_or_b32 s13, s13, s15
	s_or_b32 exec_lo, exec_lo, s14
	v_mov_b32_e32 v6, 0
	s_and_saveexec_b32 s14, s13
	s_cbranch_execnz .LBB10_172
	s_branch .LBB10_173
.LBB10_208:                             ;   in Loop: Header=BB10_81 Depth=1
	v_bfe_u32 v7, v5, 20, 1
	s_mov_b32 s13, exec_lo
	s_delay_alu instid0(VALU_DEP_1) | instskip(NEXT) | instid1(VALU_DEP_1)
	v_add3_u32 v7, v5, v7, 0x487ffff
	v_bfe_u32 v7, v7, 20, 8
	s_and_not1_saveexec_b32 s14, s14
	s_cbranch_execz .LBB10_177
.LBB10_209:                             ;   in Loop: Header=BB10_81 Depth=1
	v_add_f32_e64 v7, 0x46000000, |v5|
	s_and_not1_b32 s13, s13, exec_lo
	s_delay_alu instid0(VALU_DEP_1) | instskip(NEXT) | instid1(VALU_DEP_1)
	v_and_b32_e32 v7, 0xff, v7
	v_cmp_ne_u32_e32 vcc_lo, 0, v7
	s_and_b32 s15, vcc_lo, exec_lo
	s_delay_alu instid0(SALU_CYCLE_1)
	s_or_b32 s13, s13, s15
	s_or_b32 exec_lo, exec_lo, s14
	v_mov_b32_e32 v8, 0
	s_and_saveexec_b32 s14, s13
	s_cbranch_execz .LBB10_76
.LBB10_210:                             ;   in Loop: Header=BB10_81 Depth=1
	v_and_b32_e32 v5, 0x80000000, v5
	s_delay_alu instid0(VALU_DEP_1)
	v_lshl_or_b32 v8, v7, 24, v5
	s_branch .LBB10_76
.LBB10_211:
	s_endpgm
	.section	.rodata,"a",@progbits
	.p2align	6, 0x0
	.amdhsa_kernel _ZN4vllm39rms_norm_dynamic_per_token_quant_kernelIN3c104HalfENS1_15Float8_e4m3fnuzELb0EEEvPT0_PfPKT_S9_PKffiPS7_
		.amdhsa_group_segment_fixed_size 272
		.amdhsa_private_segment_fixed_size 0
		.amdhsa_kernarg_size 312
		.amdhsa_user_sgpr_count 2
		.amdhsa_user_sgpr_dispatch_ptr 0
		.amdhsa_user_sgpr_queue_ptr 0
		.amdhsa_user_sgpr_kernarg_segment_ptr 1
		.amdhsa_user_sgpr_dispatch_id 0
		.amdhsa_user_sgpr_kernarg_preload_length 0
		.amdhsa_user_sgpr_kernarg_preload_offset 0
		.amdhsa_user_sgpr_private_segment_size 0
		.amdhsa_wavefront_size32 1
		.amdhsa_uses_dynamic_stack 0
		.amdhsa_enable_private_segment 0
		.amdhsa_system_sgpr_workgroup_id_x 1
		.amdhsa_system_sgpr_workgroup_id_y 0
		.amdhsa_system_sgpr_workgroup_id_z 0
		.amdhsa_system_sgpr_workgroup_info 0
		.amdhsa_system_vgpr_workitem_id 0
		.amdhsa_next_free_vgpr 24
		.amdhsa_next_free_sgpr 37
		.amdhsa_named_barrier_count 0
		.amdhsa_reserve_vcc 1
		.amdhsa_float_round_mode_32 0
		.amdhsa_float_round_mode_16_64 0
		.amdhsa_float_denorm_mode_32 3
		.amdhsa_float_denorm_mode_16_64 3
		.amdhsa_fp16_overflow 0
		.amdhsa_memory_ordered 1
		.amdhsa_forward_progress 1
		.amdhsa_inst_pref_size 97
		.amdhsa_round_robin_scheduling 0
		.amdhsa_exception_fp_ieee_invalid_op 0
		.amdhsa_exception_fp_denorm_src 0
		.amdhsa_exception_fp_ieee_div_zero 0
		.amdhsa_exception_fp_ieee_overflow 0
		.amdhsa_exception_fp_ieee_underflow 0
		.amdhsa_exception_fp_ieee_inexact 0
		.amdhsa_exception_int_div_zero 0
	.end_amdhsa_kernel
	.section	.text._ZN4vllm39rms_norm_dynamic_per_token_quant_kernelIN3c104HalfENS1_15Float8_e4m3fnuzELb0EEEvPT0_PfPKT_S9_PKffiPS7_,"axG",@progbits,_ZN4vllm39rms_norm_dynamic_per_token_quant_kernelIN3c104HalfENS1_15Float8_e4m3fnuzELb0EEEvPT0_PfPKT_S9_PKffiPS7_,comdat
.Lfunc_end10:
	.size	_ZN4vllm39rms_norm_dynamic_per_token_quant_kernelIN3c104HalfENS1_15Float8_e4m3fnuzELb0EEEvPT0_PfPKT_S9_PKffiPS7_, .Lfunc_end10-_ZN4vllm39rms_norm_dynamic_per_token_quant_kernelIN3c104HalfENS1_15Float8_e4m3fnuzELb0EEEvPT0_PfPKT_S9_PKffiPS7_
                                        ; -- End function
	.set _ZN4vllm39rms_norm_dynamic_per_token_quant_kernelIN3c104HalfENS1_15Float8_e4m3fnuzELb0EEEvPT0_PfPKT_S9_PKffiPS7_.num_vgpr, 24
	.set _ZN4vllm39rms_norm_dynamic_per_token_quant_kernelIN3c104HalfENS1_15Float8_e4m3fnuzELb0EEEvPT0_PfPKT_S9_PKffiPS7_.num_agpr, 0
	.set _ZN4vllm39rms_norm_dynamic_per_token_quant_kernelIN3c104HalfENS1_15Float8_e4m3fnuzELb0EEEvPT0_PfPKT_S9_PKffiPS7_.numbered_sgpr, 37
	.set _ZN4vllm39rms_norm_dynamic_per_token_quant_kernelIN3c104HalfENS1_15Float8_e4m3fnuzELb0EEEvPT0_PfPKT_S9_PKffiPS7_.num_named_barrier, 0
	.set _ZN4vllm39rms_norm_dynamic_per_token_quant_kernelIN3c104HalfENS1_15Float8_e4m3fnuzELb0EEEvPT0_PfPKT_S9_PKffiPS7_.private_seg_size, 0
	.set _ZN4vllm39rms_norm_dynamic_per_token_quant_kernelIN3c104HalfENS1_15Float8_e4m3fnuzELb0EEEvPT0_PfPKT_S9_PKffiPS7_.uses_vcc, 1
	.set _ZN4vllm39rms_norm_dynamic_per_token_quant_kernelIN3c104HalfENS1_15Float8_e4m3fnuzELb0EEEvPT0_PfPKT_S9_PKffiPS7_.uses_flat_scratch, 0
	.set _ZN4vllm39rms_norm_dynamic_per_token_quant_kernelIN3c104HalfENS1_15Float8_e4m3fnuzELb0EEEvPT0_PfPKT_S9_PKffiPS7_.has_dyn_sized_stack, 0
	.set _ZN4vllm39rms_norm_dynamic_per_token_quant_kernelIN3c104HalfENS1_15Float8_e4m3fnuzELb0EEEvPT0_PfPKT_S9_PKffiPS7_.has_recursion, 0
	.set _ZN4vllm39rms_norm_dynamic_per_token_quant_kernelIN3c104HalfENS1_15Float8_e4m3fnuzELb0EEEvPT0_PfPKT_S9_PKffiPS7_.has_indirect_call, 0
	.section	.AMDGPU.csdata,"",@progbits
; Kernel info:
; codeLenInByte = 12408
; TotalNumSgprs: 39
; NumVgprs: 24
; ScratchSize: 0
; MemoryBound: 0
; FloatMode: 240
; IeeeMode: 1
; LDSByteSize: 272 bytes/workgroup (compile time only)
; SGPRBlocks: 0
; VGPRBlocks: 1
; NumSGPRsForWavesPerEU: 39
; NumVGPRsForWavesPerEU: 24
; NamedBarCnt: 0
; Occupancy: 16
; WaveLimiterHint : 0
; COMPUTE_PGM_RSRC2:SCRATCH_EN: 0
; COMPUTE_PGM_RSRC2:USER_SGPR: 2
; COMPUTE_PGM_RSRC2:TRAP_HANDLER: 0
; COMPUTE_PGM_RSRC2:TGID_X_EN: 1
; COMPUTE_PGM_RSRC2:TGID_Y_EN: 0
; COMPUTE_PGM_RSRC2:TGID_Z_EN: 0
; COMPUTE_PGM_RSRC2:TIDIG_COMP_CNT: 0
	.section	.text._ZN4vllm39rms_norm_dynamic_per_token_quant_kernelIN3c104HalfEaLb0EEEvPT0_PfPKT_S8_PKffiPS6_,"axG",@progbits,_ZN4vllm39rms_norm_dynamic_per_token_quant_kernelIN3c104HalfEaLb0EEEvPT0_PfPKT_S8_PKffiPS6_,comdat
	.protected	_ZN4vllm39rms_norm_dynamic_per_token_quant_kernelIN3c104HalfEaLb0EEEvPT0_PfPKT_S8_PKffiPS6_ ; -- Begin function _ZN4vllm39rms_norm_dynamic_per_token_quant_kernelIN3c104HalfEaLb0EEEvPT0_PfPKT_S8_PKffiPS6_
	.globl	_ZN4vllm39rms_norm_dynamic_per_token_quant_kernelIN3c104HalfEaLb0EEEvPT0_PfPKT_S8_PKffiPS6_
	.p2align	8
	.type	_ZN4vllm39rms_norm_dynamic_per_token_quant_kernelIN3c104HalfEaLb0EEEvPT0_PfPKT_S8_PKffiPS6_,@function
_ZN4vllm39rms_norm_dynamic_per_token_quant_kernelIN3c104HalfEaLb0EEEvPT0_PfPKT_S8_PKffiPS6_: ; @_ZN4vllm39rms_norm_dynamic_per_token_quant_kernelIN3c104HalfEaLb0EEEvPT0_PfPKT_S8_PKffiPS6_
; %bb.0:
	s_clause 0x1
	s_load_b128 s[20:23], s[0:1], 0x20
	s_load_b256 s[12:19], s[0:1], 0x0
	s_getreg_b32 s26, hwreg(HW_REG_IB_STS2, 6, 4)
	s_wait_kmcnt 0x0
	s_and_b32 s2, s23, 3
	s_delay_alu instid0(SALU_CYCLE_1)
	s_cmp_lg_u32 s2, 0
	s_cbranch_scc0 .LBB11_31
; %bb.1:
	s_bfe_u32 s2, ttmp6, 0x4000c
	s_and_b32 s3, ttmp6, 15
	s_add_co_i32 s2, s2, 1
	s_delay_alu instid0(SALU_CYCLE_1)
	s_mul_i32 s4, ttmp9, s2
	v_cmp_gt_u32_e64 s2, s23, v0
	s_add_co_i32 s4, s3, s4
	v_cmp_le_u32_e64 s3, s23, v0
	s_cmp_eq_u32 s26, 0
	s_cselect_b32 s24, ttmp9, s4
                                        ; implicit-def: $sgpr4_sgpr5
	s_and_saveexec_b32 s6, s3
	s_delay_alu instid0(SALU_CYCLE_1)
	s_xor_b32 s6, exec_lo, s6
; %bb.2:
	s_add_nc_u64 s[4:5], s[0:1], 56
; %bb.3:
	s_or_saveexec_b32 s8, s6
	v_mov_b64_e32 v[2:3], s[4:5]
	v_mov_b32_e32 v4, 0
	s_xor_b32 exec_lo, exec_lo, s8
	s_cbranch_execz .LBB11_7
; %bb.4:
	s_load_b32 s9, s[0:1], 0x44
	s_ashr_i32 s5, s23, 31
	s_mov_b32 s4, s23
	s_mov_b32 s25, 0
	v_dual_mov_b32 v4, 0 :: v_dual_mov_b32 v1, v0
	s_mul_u64 s[4:5], s[4:5], s[24:25]
	s_delay_alu instid0(SALU_CYCLE_1) | instskip(NEXT) | instid1(SALU_CYCLE_1)
	s_lshl_b64 s[4:5], s[4:5], 1
	s_add_nc_u64 s[6:7], s[16:17], s[4:5]
	s_add_nc_u64 s[4:5], s[0:1], 56
	s_wait_kmcnt 0x0
	s_and_b32 s9, s9, 0xffff
.LBB11_5:                               ; =>This Inner Loop Header: Depth=1
	global_load_u16 v2, v1, s[6:7] scale_offset
	s_wait_xcnt 0x0
	v_add_nc_u32_e32 v1, s9, v1
	s_delay_alu instid0(VALU_DEP_1)
	v_cmp_le_u32_e32 vcc_lo, s23, v1
	s_or_b32 s25, vcc_lo, s25
	s_wait_loadcnt 0x0
	v_fma_mix_f32 v4, v2, v2, v4 op_sel_hi:[1,1,0]
	s_and_not1_b32 exec_lo, exec_lo, s25
	s_cbranch_execnz .LBB11_5
; %bb.6:
	s_or_b32 exec_lo, exec_lo, s25
	v_mov_b64_e32 v[2:3], s[4:5]
.LBB11_7:
	s_or_b32 exec_lo, exec_lo, s8
	global_load_b32 v1, v[2:3], off
	v_mov_b32_e32 v7, 0
	v_and_b32_e32 v10, 0x3c0, v0
	s_wait_loadcnt 0x0
	v_cmp_lt_u32_e32 vcc_lo, s24, v1
	v_mbcnt_lo_u32_b32 v1, -1, 0
	v_cndmask_b32_e64 v6, 18, 12, vcc_lo
	s_delay_alu instid0(VALU_DEP_2) | instskip(SKIP_2) | instid1(VALU_DEP_4)
	v_cmp_ne_u32_e32 vcc_lo, 63, v1
	v_cmp_eq_u32_e64 s4, 0, v1
	v_dual_add_nc_u32 v13, 2, v1 :: v_dual_add_nc_u32 v15, 4, v1
	v_add_nc_u64_e32 v[2:3], v[2:3], v[6:7]
	v_dual_add_nc_u32 v18, 8, v1 :: v_dual_add_nc_u32 v17, 16, v1
	v_dual_lshlrev_b32 v7, 2, v1 :: v_dual_bitop2_b32 v19, 32, v1 bitop3:0x54
	global_load_u16 v2, v[2:3], off
	s_wait_xcnt 0x0
	v_add_co_ci_u32_e64 v3, null, 0, v1, vcc_lo
	v_cmp_gt_u32_e32 vcc_lo, 62, v1
	s_delay_alu instid0(VALU_DEP_2)
	v_lshlrev_b32_e32 v9, 2, v3
	v_cndmask_b32_e64 v5, 0, 2, vcc_lo
	ds_bpermute_b32 v3, v9, v4
	v_add_nc_u32_e32 v8, 1, v1
	v_add_lshl_u32 v11, v5, v1, 2
	s_wait_dscnt 0x0
	v_add_f32_e32 v3, v4, v3
	s_wait_loadcnt 0x0
	v_sub_nc_u32_e64 v6, v2, v10 clamp
	s_delay_alu instid0(VALU_DEP_1) | instskip(NEXT) | instid1(VALU_DEP_3)
	v_cmp_lt_u32_e32 vcc_lo, v8, v6
	v_cndmask_b32_e32 v3, v4, v3, vcc_lo
	v_cmp_gt_u32_e32 vcc_lo, 60, v1
	ds_bpermute_b32 v4, v11, v3
	v_cndmask_b32_e64 v5, 0, 4, vcc_lo
	v_cmp_lt_u32_e32 vcc_lo, v13, v6
	s_delay_alu instid0(VALU_DEP_2) | instskip(SKIP_2) | instid1(VALU_DEP_1)
	v_add_lshl_u32 v12, v5, v1, 2
	s_wait_dscnt 0x0
	v_add_f32_e32 v4, v3, v4
	v_cndmask_b32_e32 v3, v3, v4, vcc_lo
	v_cmp_gt_u32_e32 vcc_lo, 56, v1
	ds_bpermute_b32 v4, v12, v3
	v_cndmask_b32_e64 v5, 0, 8, vcc_lo
	v_cmp_lt_u32_e32 vcc_lo, v15, v6
	s_delay_alu instid0(VALU_DEP_2) | instskip(SKIP_2) | instid1(VALU_DEP_1)
	v_add_lshl_u32 v14, v5, v1, 2
	s_wait_dscnt 0x0
	v_add_f32_e32 v4, v3, v4
	;; [unrolled: 9-line block ×3, first 2 shown]
	v_cndmask_b32_e32 v3, v3, v4, vcc_lo
	v_cmp_lt_u32_e32 vcc_lo, v17, v6
	ds_bpermute_b32 v4, v16, v3
	s_wait_dscnt 0x0
	v_add_f32_e32 v4, v3, v4
	s_delay_alu instid0(VALU_DEP_1) | instskip(SKIP_4) | instid1(VALU_DEP_1)
	v_cndmask_b32_e32 v3, v3, v4, vcc_lo
	v_cmp_lt_u32_e32 vcc_lo, v19, v6
	ds_bpermute_b32 v4, v7, v3 offset:128
	s_wait_dscnt 0x0
	v_add_f32_e32 v4, v3, v4
	v_cndmask_b32_e32 v3, v3, v4, vcc_lo
	s_and_saveexec_b32 s5, s4
; %bb.8:
	v_lshrrev_b32_e32 v4, 4, v0
	s_delay_alu instid0(VALU_DEP_1)
	v_and_b32_e32 v4, 60, v4
	ds_store_b32 v4, v3 offset:128
; %bb.9:
	s_or_b32 exec_lo, exec_lo, s5
	v_cmp_gt_u32_e64 s5, 16, v0
	v_and_b32_e32 v5, 15, v1
	v_or_b32_e32 v6, 32, v7
	s_wait_dscnt 0x0
	s_barrier_signal -1
	s_barrier_wait -1
	s_and_saveexec_b32 s7, s5
	s_cbranch_execz .LBB11_11
; %bb.10:
	ds_load_b32 v3, v7 offset:128
	v_cmp_ne_u32_e32 vcc_lo, 15, v5
	v_cmp_gt_u32_e64 s6, 12, v5
	v_dual_add_nc_u32 v2, 63, v2 :: v_dual_add_nc_u32 v20, 1, v5
	v_add_co_ci_u32_e64 v4, null, 0, v1, vcc_lo
	v_cmp_gt_u32_e32 vcc_lo, 14, v5
	s_delay_alu instid0(VALU_DEP_4) | instskip(NEXT) | instid1(VALU_DEP_3)
	v_cndmask_b32_e64 v22, 0, 4, s6
	v_dual_lshrrev_b32 v2, 6, v2 :: v_dual_lshlrev_b32 v4, 2, v4
	v_cndmask_b32_e64 v21, 0, 2, vcc_lo
	s_delay_alu instid0(VALU_DEP_2) | instskip(NEXT) | instid1(VALU_DEP_2)
	v_cmp_lt_u32_e32 vcc_lo, v20, v2
	v_add_lshl_u32 v21, v21, v1, 2
	s_wait_dscnt 0x0
	ds_bpermute_b32 v4, v4, v3
	s_wait_dscnt 0x0
	v_add_f32_e32 v4, v3, v4
	s_delay_alu instid0(VALU_DEP_1) | instskip(SKIP_2) | instid1(VALU_DEP_1)
	v_cndmask_b32_e32 v4, v3, v4, vcc_lo
	ds_bpermute_b32 v20, v21, v4
	v_add_nc_u32_e32 v21, 2, v5
	v_cmp_lt_u32_e64 s6, v21, v2
	s_wait_dscnt 0x0
	v_dual_add_f32 v20, v4, v20 :: v_dual_add_nc_u32 v21, 4, v5
	s_delay_alu instid0(VALU_DEP_1) | instskip(SKIP_1) | instid1(VALU_DEP_3)
	v_cndmask_b32_e64 v4, v4, v20, s6
	v_add_lshl_u32 v20, v22, v1, 2
	v_cmp_lt_u32_e64 s6, v21, v2
	v_add_nc_u32_e32 v21, 8, v5
	ds_bpermute_b32 v20, v20, v4
	s_wait_dscnt 0x0
	v_add_f32_e32 v20, v4, v20
	s_delay_alu instid0(VALU_DEP_1) | instskip(SKIP_4) | instid1(VALU_DEP_1)
	v_cndmask_b32_e64 v4, v4, v20, s6
	v_cmp_lt_u32_e64 s6, v21, v2
	ds_bpermute_b32 v20, v6, v4
	s_wait_dscnt 0x0
	v_add_f32_e32 v20, v4, v20
	v_cndmask_b32_e64 v2, v4, v20, s6
	s_delay_alu instid0(VALU_DEP_1)
	v_cndmask_b32_e32 v3, v3, v2, vcc_lo
.LBB11_11:
	s_or_b32 exec_lo, exec_lo, s7
	v_cmp_eq_u32_e64 s6, 0, v0
	s_mov_b32 s25, 0
	s_and_saveexec_b32 s7, s6
	s_cbranch_execz .LBB11_13
; %bb.12:
	s_cvt_f32_i32 s8, s23
	s_delay_alu instid0(SALU_CYCLE_3) | instskip(SKIP_1) | instid1(VALU_DEP_2)
	v_div_scale_f32 v2, null, s8, s8, v3
	v_div_scale_f32 v21, vcc_lo, v3, s8, v3
	v_rcp_f32_e32 v4, v2
	v_nop
	s_delay_alu instid0(TRANS32_DEP_1) | instskip(NEXT) | instid1(VALU_DEP_1)
	v_fma_f32 v20, -v2, v4, 1.0
	v_fmac_f32_e32 v4, v20, v4
	s_delay_alu instid0(VALU_DEP_1) | instskip(NEXT) | instid1(VALU_DEP_1)
	v_mul_f32_e32 v20, v21, v4
	v_fma_f32 v22, -v2, v20, v21
	s_delay_alu instid0(VALU_DEP_1) | instskip(NEXT) | instid1(VALU_DEP_1)
	v_fmac_f32_e32 v20, v22, v4
	v_fma_f32 v2, -v2, v20, v21
	s_delay_alu instid0(VALU_DEP_1) | instskip(NEXT) | instid1(VALU_DEP_1)
	v_div_fmas_f32 v2, v2, v4, v20
	v_div_fixup_f32 v2, v2, s8, v3
	s_delay_alu instid0(VALU_DEP_1) | instskip(NEXT) | instid1(VALU_DEP_1)
	v_add_f32_e32 v2, s22, v2
	v_mul_f32_e32 v3, 0x4b800000, v2
	v_cmp_gt_f32_e32 vcc_lo, 0x800000, v2
	s_delay_alu instid0(VALU_DEP_2) | instskip(NEXT) | instid1(VALU_DEP_1)
	v_cndmask_b32_e32 v2, v2, v3, vcc_lo
	v_rsq_f32_e32 v2, v2
	v_nop
	s_delay_alu instid0(TRANS32_DEP_1) | instskip(NEXT) | instid1(VALU_DEP_1)
	v_mul_f32_e32 v3, 0x45800000, v2
	v_dual_cndmask_b32 v2, v2, v3 :: v_dual_mov_b32 v3, 0
	ds_store_b32 v3, v2 offset:264
.LBB11_13:
	s_or_b32 exec_lo, exec_lo, s7
	v_mov_b32_e32 v20, 0
	s_wait_dscnt 0x0
	s_barrier_signal -1
	s_barrier_wait -1
	ds_load_b32 v4, v20 offset:264
                                        ; implicit-def: $sgpr8_sgpr9
	s_and_saveexec_b32 s7, s3
	s_delay_alu instid0(SALU_CYCLE_1)
	s_xor_b32 s3, exec_lo, s7
; %bb.14:
	s_add_nc_u64 s[8:9], s[0:1], 56
; %bb.15:
	s_or_saveexec_b32 s3, s3
	v_mov_b64_e32 v[2:3], s[8:9]
	s_xor_b32 exec_lo, exec_lo, s3
	s_cbranch_execz .LBB11_19
; %bb.16:
	s_load_b32 s7, s[0:1], 0x44
	s_ashr_i32 s11, s23, 31
	s_mov_b32 s10, s23
	v_dual_mov_b32 v20, 0 :: v_dual_mov_b32 v2, v0
	s_mul_u64 s[10:11], s[10:11], s[24:25]
	s_add_nc_u64 s[8:9], s[0:1], 56
	s_lshl_b64 s[10:11], s[10:11], 1
	s_delay_alu instid0(SALU_CYCLE_1)
	s_add_nc_u64 s[10:11], s[16:17], s[10:11]
	s_wait_kmcnt 0x0
	s_and_b32 s27, s7, 0xffff
	s_mov_b32 s7, 0
.LBB11_17:                              ; =>This Inner Loop Header: Depth=1
	s_clause 0x1
	global_load_u16 v3, v2, s[10:11] scale_offset
	global_load_u16 v21, v2, s[18:19] scale_offset
	s_wait_xcnt 0x0
	v_dual_add_nc_u32 v2, s27, v2 :: v_dual_max_num_f32 v20, v20, v20
	s_delay_alu instid0(VALU_DEP_1) | instskip(SKIP_4) | instid1(VALU_DEP_1)
	v_cmp_le_u32_e32 vcc_lo, s23, v2
	s_or_b32 s7, vcc_lo, s7
	s_wait_loadcnt_dscnt 0x100
	v_fma_mixlo_f16 v3, v4, v3, 0 op_sel_hi:[0,1,0]
	s_wait_loadcnt 0x0
	v_mul_f16_e32 v3, v21, v3
	s_delay_alu instid0(VALU_DEP_1) | instskip(NEXT) | instid1(VALU_DEP_1)
	v_cvt_f32_f16_e64 v3, |v3|
	v_max_num_f32_e32 v20, v20, v3
	s_and_not1_b32 exec_lo, exec_lo, s7
	s_cbranch_execnz .LBB11_17
; %bb.18:
	s_or_b32 exec_lo, exec_lo, s7
	v_mov_b64_e32 v[2:3], s[8:9]
.LBB11_19:
	s_or_b32 exec_lo, exec_lo, s3
	global_load_b32 v22, v[2:3], off
	v_mov_b32_e32 v23, 0
	v_or_b32_e32 v21, 0x80, v7
	s_wait_loadcnt 0x0
	v_cmp_lt_u32_e32 vcc_lo, s24, v22
	v_cndmask_b32_e64 v22, 18, 12, vcc_lo
	s_delay_alu instid0(VALU_DEP_1)
	v_add_nc_u64_e32 v[2:3], v[2:3], v[22:23]
	global_load_u16 v2, v[2:3], off
	s_wait_xcnt 0x0
	ds_bpermute_b32 v3, v9, v20
	s_wait_dscnt 0x0
	v_cmp_lt_f32_e32 vcc_lo, v20, v3
	v_cndmask_b32_e32 v3, v20, v3, vcc_lo
	s_wait_loadcnt 0x0
	v_sub_nc_u32_e64 v9, v2, v10 clamp
	s_delay_alu instid0(VALU_DEP_1)
	v_cmp_lt_u32_e32 vcc_lo, v8, v9
	v_cmp_lt_u32_e64 s10, v19, v9
	v_cndmask_b32_e32 v3, v20, v3, vcc_lo
	ds_bpermute_b32 v8, v11, v3
	s_wait_dscnt 0x0
	v_cmp_lt_f32_e64 s3, v3, v8
	s_delay_alu instid0(VALU_DEP_1) | instskip(SKIP_1) | instid1(VALU_DEP_1)
	v_cndmask_b32_e64 v8, v3, v8, s3
	v_cmp_lt_u32_e64 s3, v13, v9
	v_cndmask_b32_e64 v3, v3, v8, s3
	s_or_b32 s3, vcc_lo, s3
	ds_bpermute_b32 v8, v12, v3
	s_wait_dscnt 0x0
	v_cmp_lt_f32_e64 s7, v3, v8
	s_delay_alu instid0(VALU_DEP_1) | instskip(SKIP_1) | instid1(VALU_DEP_1)
	v_cndmask_b32_e64 v8, v3, v8, s7
	v_cmp_lt_u32_e64 s7, v15, v9
	v_cndmask_b32_e64 v3, v3, v8, s7
	s_or_b32 s3, s7, s3
	ds_bpermute_b32 v8, v14, v3
	s_wait_dscnt 0x0
	v_cmp_lt_f32_e64 s8, v3, v8
	s_delay_alu instid0(VALU_DEP_1) | instskip(SKIP_1) | instid1(VALU_DEP_1)
	v_cndmask_b32_e64 v8, v3, v8, s8
	v_cmp_lt_u32_e64 s8, v18, v9
	v_cndmask_b32_e64 v3, v3, v8, s8
	s_or_b32 s3, s8, s3
	;; [unrolled: 8-line block ×3, first 2 shown]
	ds_bpermute_b32 v8, v21, v3
	s_wait_dscnt 0x0
	v_cmp_lt_f32_e32 vcc_lo, v3, v8
	s_and_b32 vcc_lo, s10, vcc_lo
	v_cndmask_b32_e32 v3, v3, v8, vcc_lo
	s_or_b32 vcc_lo, s10, s3
	s_delay_alu instid0(VALU_DEP_1)
	v_cndmask_b32_e32 v3, v20, v3, vcc_lo
	s_and_saveexec_b32 s3, s4
; %bb.20:
	v_lshrrev_b32_e32 v8, 4, v0
	s_delay_alu instid0(VALU_DEP_1)
	v_and_b32_e32 v8, 60, v8
	ds_store_b32 v8, v3 offset:192
; %bb.21:
	s_or_b32 exec_lo, exec_lo, s3
	s_wait_dscnt 0x0
	s_barrier_signal -1
	s_barrier_wait -1
	s_and_saveexec_b32 s7, s5
	s_cbranch_execz .LBB11_23
; %bb.22:
	ds_load_b32 v3, v7 offset:192
	v_cmp_ne_u32_e32 vcc_lo, 15, v5
	v_cmp_gt_u32_e64 s3, 12, v5
	v_dual_add_nc_u32 v2, 63, v2 :: v_dual_add_nc_u32 v8, 1, v5
	v_add_co_ci_u32_e64 v7, null, 0, v1, vcc_lo
	v_cmp_gt_u32_e32 vcc_lo, 14, v5
	s_delay_alu instid0(VALU_DEP_4) | instskip(NEXT) | instid1(VALU_DEP_3)
	v_cndmask_b32_e64 v10, 0, 4, s3
	v_dual_lshrrev_b32 v2, 6, v2 :: v_dual_lshlrev_b32 v7, 2, v7
	v_cndmask_b32_e64 v9, 0, 2, vcc_lo
	s_delay_alu instid0(VALU_DEP_1) | instskip(NEXT) | instid1(VALU_DEP_4)
	v_add_lshl_u32 v9, v9, v1, 2
	v_add_lshl_u32 v1, v10, v1, 2
	s_wait_dscnt 0x0
	ds_bpermute_b32 v7, v7, v3
	s_wait_dscnt 0x0
	v_cmp_lt_f32_e32 vcc_lo, v3, v7
	v_cndmask_b32_e32 v7, v3, v7, vcc_lo
	v_cmp_lt_u32_e32 vcc_lo, v8, v2
	s_delay_alu instid0(VALU_DEP_2) | instskip(SKIP_4) | instid1(VALU_DEP_1)
	v_cndmask_b32_e32 v7, v3, v7, vcc_lo
	ds_bpermute_b32 v8, v9, v7
	v_add_nc_u32_e32 v9, 2, v5
	s_wait_dscnt 0x0
	v_cmp_lt_f32_e64 s3, v7, v8
	v_cndmask_b32_e64 v8, v7, v8, s3
	s_delay_alu instid0(VALU_DEP_3) | instskip(NEXT) | instid1(VALU_DEP_1)
	v_cmp_lt_u32_e64 s3, v9, v2
	v_dual_cndmask_b32 v7, v7, v8, s3 :: v_dual_add_nc_u32 v8, 4, v5
	v_add_nc_u32_e32 v5, 8, v5
	ds_bpermute_b32 v1, v1, v7
	s_wait_dscnt 0x0
	v_cmp_lt_f32_e64 s3, v7, v1
	s_delay_alu instid0(VALU_DEP_1) | instskip(SKIP_1) | instid1(VALU_DEP_1)
	v_cndmask_b32_e64 v1, v7, v1, s3
	v_cmp_lt_u32_e64 s3, v8, v2
	v_cndmask_b32_e64 v1, v7, v1, s3
	v_cmp_lt_u32_e64 s3, v5, v2
	ds_bpermute_b32 v6, v6, v1
	s_wait_dscnt 0x0
	v_cmp_lt_f32_e64 s4, v1, v6
	s_and_b32 s3, s3, s4
	s_delay_alu instid0(SALU_CYCLE_1) | instskip(NEXT) | instid1(VALU_DEP_1)
	v_cndmask_b32_e64 v1, v1, v6, s3
	v_cndmask_b32_e32 v3, v3, v1, vcc_lo
.LBB11_23:
	s_or_b32 exec_lo, exec_lo, s7
	s_and_saveexec_b32 s3, s6
	s_cbranch_execz .LBB11_27
; %bb.24:
	s_cmp_eq_u64 s[20:21], 0
	s_cbranch_scc1 .LBB11_26
; %bb.25:
	s_load_b32 s4, s[20:21], 0x0
	v_max_num_f32_e32 v1, v3, v3
	s_wait_kmcnt 0x0
	v_max_num_f32_e64 v2, s4, s4
	s_delay_alu instid0(VALU_DEP_1)
	v_min_num_f32_e32 v3, v1, v2
.LBB11_26:
	s_delay_alu instid0(VALU_DEP_1)
	v_div_scale_f32 v1, null, 0x42fe0000, 0x42fe0000, v3
	v_div_scale_f32 v6, vcc_lo, v3, 0x42fe0000, v3
	s_lshl_b64 s[4:5], s[24:25], 2
	v_rcp_f32_e32 v2, v1
	s_add_nc_u64 s[4:5], s[14:15], s[4:5]
	v_nop
	s_delay_alu instid0(TRANS32_DEP_1) | instskip(NEXT) | instid1(VALU_DEP_1)
	v_fma_f32 v5, -v1, v2, 1.0
	v_fmac_f32_e32 v2, v5, v2
	s_delay_alu instid0(VALU_DEP_1) | instskip(NEXT) | instid1(VALU_DEP_1)
	v_mul_f32_e32 v5, v6, v2
	v_fma_f32 v7, -v1, v5, v6
	s_delay_alu instid0(VALU_DEP_1) | instskip(NEXT) | instid1(VALU_DEP_1)
	v_fmac_f32_e32 v5, v7, v2
	v_fma_f32 v1, -v1, v5, v6
	s_delay_alu instid0(VALU_DEP_1) | instskip(SKIP_1) | instid1(VALU_DEP_2)
	v_div_fmas_f32 v1, v1, v2, v5
	v_mov_b32_e32 v2, 0
	v_div_fixup_f32 v1, v1, 0x42fe0000, v3
	s_delay_alu instid0(VALU_DEP_1)
	v_max_num_f32_e32 v1, 0x34000000, v1
	ds_store_b32 v2, v1 offset:268
	global_store_b32 v2, v1, s[4:5]
.LBB11_27:
	s_wait_xcnt 0x0
	s_or_b32 exec_lo, exec_lo, s3
	s_wait_storecnt_dscnt 0x0
	s_barrier_signal -1
	s_barrier_wait -1
	s_and_saveexec_b32 s4, s2
	s_cbranch_execz .LBB11_30
; %bb.28:
	v_mov_b32_e32 v3, 0
	s_load_b32 s5, s[0:1], 0x44
	s_ashr_i32 s3, s23, 31
	s_mov_b32 s2, s23
	s_mov_b32 s6, 0
	ds_load_b32 v1, v3 offset:268
	s_mul_u64 s[2:3], s[2:3], s[24:25]
	s_wait_kmcnt 0x0
	s_and_b32 s5, s5, 0xffff
	s_wait_dscnt 0x0
	v_div_scale_f32 v2, null, v1, v1, 1.0
	v_div_scale_f32 v7, vcc_lo, 1.0, v1, 1.0
	s_delay_alu instid0(VALU_DEP_2)
	v_rcp_f32_e32 v5, v2
	v_nop
	v_xor_b32_e32 v2, 0x80000000, v2
	s_delay_alu instid0(TRANS32_DEP_1) | instid1(VALU_DEP_1)
	v_fma_f32 v6, v2, v5, 1.0
	s_delay_alu instid0(VALU_DEP_1) | instskip(NEXT) | instid1(VALU_DEP_1)
	v_fmac_f32_e32 v5, v6, v5
	v_mul_f32_e32 v6, v7, v5
	s_delay_alu instid0(VALU_DEP_1) | instskip(NEXT) | instid1(VALU_DEP_1)
	v_fma_f32 v8, v2, v6, v7
	v_fmac_f32_e32 v6, v8, v5
	s_delay_alu instid0(VALU_DEP_1) | instskip(NEXT) | instid1(VALU_DEP_1)
	v_fmac_f32_e32 v7, v2, v6
	v_div_fmas_f32 v2, v7, v5, v6
	s_delay_alu instid0(VALU_DEP_1)
	v_div_fixup_f32 v1, v2, v1, 1.0
	v_mov_b32_e32 v2, v0
.LBB11_29:                              ; =>This Inner Loop Header: Depth=1
	s_delay_alu instid0(VALU_DEP_1) | instskip(NEXT) | instid1(VALU_DEP_1)
	v_add_nc_u64_e32 v[6:7], s[2:3], v[2:3]
	v_lshl_add_u64 v[8:9], v[6:7], 1, s[16:17]
	v_add_nc_u64_e32 v[6:7], s[12:13], v[6:7]
	global_load_u16 v5, v[8:9], off
	global_load_u16 v10, v2, s[18:19] scale_offset
	s_wait_xcnt 0x0
	v_add_nc_u32_e32 v2, s5, v2
	s_wait_loadcnt 0x1
	v_fma_mixlo_f16 v5, v4, v5, 0 op_sel_hi:[0,1,0]
	s_wait_loadcnt 0x0
	s_delay_alu instid0(VALU_DEP_1) | instskip(NEXT) | instid1(VALU_DEP_1)
	v_mul_f16_e32 v5, v10, v5
	v_cvt_f32_f16_e32 v5, v5
	s_delay_alu instid0(VALU_DEP_1) | instskip(NEXT) | instid1(VALU_DEP_1)
	v_mul_f32_e32 v5, v1, v5
	v_rndne_f32_e32 v5, v5
	s_delay_alu instid0(VALU_DEP_1) | instskip(SKIP_2) | instid1(VALU_DEP_2)
	v_cmp_nlt_f32_e32 vcc_lo, 0x42fe0000, v5
	v_cndmask_b32_e32 v8, 0x42fe0000, v5, vcc_lo
	v_cmp_ngt_f32_e32 vcc_lo, 0xc3000000, v5
	v_cndmask_b32_e32 v5, 0xc3000000, v8, vcc_lo
	v_cmp_le_u32_e32 vcc_lo, s23, v2
	s_delay_alu instid0(VALU_DEP_2)
	v_cvt_i32_f32_e32 v5, v5
	s_or_b32 s6, vcc_lo, s6
	global_store_b8 v[6:7], v5, off
	s_wait_xcnt 0x0
	s_and_not1_b32 exec_lo, exec_lo, s6
	s_cbranch_execnz .LBB11_29
.LBB11_30:
	s_or_b32 exec_lo, exec_lo, s4
	s_branch .LBB11_75
.LBB11_31:
	s_cbranch_execz .LBB11_75
; %bb.32:
	s_load_b32 s3, s[0:1], 0x38
	s_bfe_u32 s2, ttmp6, 0x4000c
	s_and_b32 s4, ttmp6, 15
	s_add_co_i32 s2, s2, 1
	s_mov_b32 s27, 0
	s_mul_i32 s2, ttmp9, s2
	v_mov_b32_e32 v1, 0
	s_add_co_i32 s4, s4, s2
	s_cmp_eq_u32 s26, 0
	s_wait_xcnt 0x0
	s_add_nc_u64 s[0:1], s[0:1], 56
	s_cselect_b32 s26, ttmp9, s4
	s_ashr_i32 s5, s23, 31
	s_mov_b32 s4, s23
	s_ashr_i32 s28, s23, 2
	s_mul_u64 s[24:25], s[4:5], s[26:27]
	v_cmp_gt_u32_e64 s2, s28, v0
	s_lshl_b64 s[4:5], s[24:25], 1
	s_delay_alu instid0(SALU_CYCLE_1)
	s_add_nc_u64 s[10:11], s[16:17], s[4:5]
	s_and_saveexec_b32 s4, s2
	s_cbranch_execz .LBB11_42
; %bb.33:
	s_wait_kmcnt 0x0
	s_cmp_lt_u32 s26, s3
	s_mov_b32 s7, s27
	s_cselect_b32 s6, 12, 18
	v_dual_mov_b32 v1, 0 :: v_dual_mov_b32 v2, v0
	s_add_nc_u64 s[6:7], s[0:1], s[6:7]
	s_mov_b32 s8, s27
	s_load_u16 s5, s[6:7], 0x0
                                        ; implicit-def: $sgpr16
	s_wait_kmcnt 0x0
	s_lshl_b32 s6, s5, 1
	s_mul_i32 s7, s5, 3
	s_add_co_i32 s9, s5, s5
	s_branch .LBB11_37
.LBB11_34:                              ;   in Loop: Header=BB11_37 Depth=1
	s_or_b32 exec_lo, exec_lo, s30
	s_delay_alu instid0(SALU_CYCLE_1)
	s_or_not1_b32 s30, s31, exec_lo
.LBB11_35:                              ;   in Loop: Header=BB11_37 Depth=1
	s_or_b32 exec_lo, exec_lo, s29
	s_delay_alu instid0(SALU_CYCLE_1) | instskip(SKIP_1) | instid1(SALU_CYCLE_1)
	s_and_not1_b32 s16, s16, exec_lo
	s_and_b32 s29, s30, exec_lo
	s_or_b32 s16, s16, s29
.LBB11_36:                              ;   in Loop: Header=BB11_37 Depth=1
	s_or_b32 exec_lo, exec_lo, s17
	s_delay_alu instid0(SALU_CYCLE_1) | instskip(NEXT) | instid1(SALU_CYCLE_1)
	s_and_b32 s17, exec_lo, s16
	s_or_b32 s8, s17, s8
	s_delay_alu instid0(SALU_CYCLE_1)
	s_and_not1_b32 exec_lo, exec_lo, s8
	s_cbranch_execz .LBB11_41
.LBB11_37:                              ; =>This Inner Loop Header: Depth=1
	global_load_b64 v[4:5], v2, s[10:11] scale_offset
	s_or_b32 s16, s16, exec_lo
	s_mov_b32 s17, exec_lo
	s_wait_loadcnt 0x0
	v_lshrrev_b32_e32 v3, 16, v4
	v_cvt_f32_f16_e32 v6, v4
	v_cvt_f32_f16_e32 v4, v5
	s_delay_alu instid0(VALU_DEP_3) | instskip(NEXT) | instid1(VALU_DEP_1)
	v_cvt_f32_f16_e32 v7, v3
	v_pk_mul_f32 v[6:7], v[6:7], v[6:7]
	s_delay_alu instid0(VALU_DEP_1) | instskip(NEXT) | instid1(VALU_DEP_1)
	v_dual_add_f32 v1, v1, v6 :: v_dual_lshrrev_b32 v3, 16, v5
	v_add_f32_e32 v1, v1, v7
	s_delay_alu instid0(VALU_DEP_2) | instskip(SKIP_1) | instid1(VALU_DEP_2)
	v_cvt_f32_f16_e32 v5, v3
	v_add_nc_u32_e32 v3, s5, v2
	v_pk_mul_f32 v[4:5], v[4:5], v[4:5]
	s_delay_alu instid0(VALU_DEP_1) | instskip(NEXT) | instid1(VALU_DEP_1)
	v_add_f32_e32 v1, v1, v4
	v_add_f32_e32 v1, v1, v5
	s_wait_xcnt 0x0
	v_cmpx_gt_u32_e64 s28, v3
	s_cbranch_execz .LBB11_36
; %bb.38:                               ;   in Loop: Header=BB11_37 Depth=1
	global_load_b64 v[4:5], v3, s[10:11] scale_offset
	s_mov_b32 s30, -1
	s_mov_b32 s29, exec_lo
	s_wait_loadcnt 0x0
	v_dual_lshrrev_b32 v7, 16, v4 :: v_dual_lshrrev_b32 v8, 16, v5
	v_cvt_f32_f16_e32 v6, v4
	v_cvt_f32_f16_e32 v4, v5
	s_delay_alu instid0(VALU_DEP_3) | instskip(NEXT) | instid1(VALU_DEP_4)
	v_cvt_f32_f16_e32 v7, v7
	v_cvt_f32_f16_e32 v5, v8
	s_delay_alu instid0(VALU_DEP_2) | instskip(NEXT) | instid1(VALU_DEP_2)
	v_pk_mul_f32 v[6:7], v[6:7], v[6:7]
	v_pk_mul_f32 v[4:5], v[4:5], v[4:5]
	s_delay_alu instid0(VALU_DEP_2) | instskip(NEXT) | instid1(VALU_DEP_1)
	v_add_f32_e32 v1, v1, v6
	v_add_f32_e32 v1, v1, v7
	s_delay_alu instid0(VALU_DEP_1) | instskip(NEXT) | instid1(VALU_DEP_1)
	v_dual_add_f32 v1, v1, v4 :: v_dual_add_nc_u32 v4, s6, v2
	v_add_f32_e32 v1, v1, v5
	s_wait_xcnt 0x0
	s_delay_alu instid0(VALU_DEP_2)
	v_cmpx_gt_u32_e64 s28, v4
	s_cbranch_execz .LBB11_35
; %bb.39:                               ;   in Loop: Header=BB11_37 Depth=1
	global_load_b64 v[4:5], v4, s[10:11] scale_offset
	s_mov_b32 s31, -1
	s_mov_b32 s30, exec_lo
	s_wait_loadcnt 0x0
	v_dual_lshrrev_b32 v7, 16, v4 :: v_dual_lshrrev_b32 v8, 16, v5
	v_cvt_f32_f16_e32 v6, v4
	s_wait_xcnt 0x0
	v_cvt_f32_f16_e32 v4, v5
	s_delay_alu instid0(VALU_DEP_3) | instskip(SKIP_1) | instid1(VALU_DEP_2)
	v_cvt_f32_f16_e32 v7, v7
	v_cvt_f32_f16_e32 v5, v8
	v_pk_mul_f32 v[6:7], v[6:7], v[6:7]
	s_delay_alu instid0(VALU_DEP_2) | instskip(NEXT) | instid1(VALU_DEP_2)
	v_pk_mul_f32 v[4:5], v[4:5], v[4:5]
	v_add_f32_e32 v1, v1, v6
	s_delay_alu instid0(VALU_DEP_1) | instskip(NEXT) | instid1(VALU_DEP_1)
	v_add_f32_e32 v1, v1, v7
	v_dual_add_f32 v1, v1, v4 :: v_dual_add_nc_u32 v4, s7, v2
                                        ; implicit-def: $vgpr2
	s_delay_alu instid0(VALU_DEP_1) | instskip(NEXT) | instid1(VALU_DEP_2)
	v_add_f32_e32 v1, v1, v5
	v_cmpx_gt_u32_e64 s28, v4
	s_xor_b32 s30, exec_lo, s30
	s_cbranch_execz .LBB11_34
; %bb.40:                               ;   in Loop: Header=BB11_37 Depth=1
	global_load_b64 v[4:5], v4, s[10:11] scale_offset
	s_wait_loadcnt 0x0
	v_lshrrev_b32_e32 v2, 16, v4
	v_cvt_f32_f16_e32 v6, v4
	s_wait_xcnt 0x0
	v_cvt_f32_f16_e32 v4, v5
	s_delay_alu instid0(VALU_DEP_3) | instskip(NEXT) | instid1(VALU_DEP_1)
	v_cvt_f32_f16_e32 v7, v2
	v_pk_mul_f32 v[6:7], v[6:7], v[6:7]
	s_delay_alu instid0(VALU_DEP_1) | instskip(NEXT) | instid1(VALU_DEP_1)
	v_dual_add_f32 v1, v1, v6 :: v_dual_lshrrev_b32 v2, 16, v5
	v_add_f32_e32 v1, v1, v7
	s_delay_alu instid0(VALU_DEP_2) | instskip(SKIP_1) | instid1(VALU_DEP_2)
	v_cvt_f32_f16_e32 v5, v2
	v_add3_u32 v2, s9, s5, v3
	v_pk_mul_f32 v[4:5], v[4:5], v[4:5]
	s_delay_alu instid0(VALU_DEP_2) | instskip(NEXT) | instid1(VALU_DEP_2)
	v_cmp_le_u32_e32 vcc_lo, s28, v2
	v_add_f32_e32 v1, v1, v4
	s_or_not1_b32 s31, vcc_lo, exec_lo
	s_delay_alu instid0(VALU_DEP_1)
	v_add_f32_e32 v1, v1, v5
	s_branch .LBB11_34
.LBB11_41:
	s_or_b32 exec_lo, exec_lo, s8
.LBB11_42:
	s_delay_alu instid0(SALU_CYCLE_1)
	s_or_b32 exec_lo, exec_lo, s4
	v_mbcnt_lo_u32_b32 v2, -1, 0
	s_wait_kmcnt 0x0
	s_cmp_lt_u32 s26, s3
	s_mov_b32 s5, 0
	s_cselect_b32 s4, 12, 18
	v_and_b32_e32 v5, 0x3c0, v0
	v_cmp_ne_u32_e32 vcc_lo, 63, v2
	s_add_nc_u64 s[0:1], s[0:1], s[4:5]
	v_cmp_eq_u32_e64 s6, 0, v2
	s_load_u16 s16, s[0:1], 0x0
	v_add_nc_u32_e32 v6, 1, v2
	v_add_co_ci_u32_e64 v3, null, 0, v2, vcc_lo
	v_cmp_gt_u32_e32 vcc_lo, 62, v2
	v_dual_add_nc_u32 v8, 4, v2 :: v_dual_add_nc_u32 v10, 8, v2
	s_delay_alu instid0(VALU_DEP_3)
	v_lshlrev_b32_e32 v4, 2, v3
	v_cndmask_b32_e64 v7, 0, 2, vcc_lo
	v_cmp_gt_u32_e32 vcc_lo, 60, v2
	ds_bpermute_b32 v3, v4, v1
	s_wait_kmcnt 0x0
	v_sub_nc_u32_e64 v9, s16, v5 clamp
	v_add_lshl_u32 v5, v7, v2, 2
	v_add_nc_u32_e32 v7, 2, v2
	s_delay_alu instid0(VALU_DEP_3) | instskip(SKIP_1) | instid1(VALU_DEP_3)
	v_cmp_lt_u32_e64 s0, v6, v9
	v_cndmask_b32_e64 v6, 0, 4, vcc_lo
	v_cmp_lt_u32_e64 s1, v7, v9
	v_cmp_gt_u32_e32 vcc_lo, 56, v2
	v_cmp_lt_u32_e64 s3, v8, v9
	v_cmp_lt_u32_e64 s4, v10, v9
	v_add_lshl_u32 v6, v6, v2, 2
	s_wait_dscnt 0x0
	v_dual_add_f32 v3, v1, v3 :: v_dual_add_nc_u32 v10, 16, v2
	v_cndmask_b32_e64 v7, 0, 8, vcc_lo
	v_cmp_gt_u32_e32 vcc_lo, 48, v2
	s_delay_alu instid0(VALU_DEP_3) | instskip(NEXT) | instid1(VALU_DEP_4)
	v_cndmask_b32_e64 v1, v1, v3, s0
	v_cmp_lt_u32_e64 s5, v10, v9
	s_delay_alu instid0(VALU_DEP_4)
	v_add_lshl_u32 v7, v7, v2, 2
	v_cndmask_b32_e64 v8, 0, 16, vcc_lo
	ds_bpermute_b32 v3, v5, v1
	v_add_lshl_u32 v8, v8, v2, 2
	s_wait_dscnt 0x0
	v_add_f32_e32 v3, v1, v3
	s_delay_alu instid0(VALU_DEP_1) | instskip(SKIP_3) | instid1(VALU_DEP_1)
	v_cndmask_b32_e64 v1, v1, v3, s1
	ds_bpermute_b32 v3, v6, v1
	s_wait_dscnt 0x0
	v_add_f32_e32 v3, v1, v3
	v_cndmask_b32_e64 v1, v1, v3, s3
	ds_bpermute_b32 v3, v7, v1
	s_wait_dscnt 0x0
	v_add_f32_e32 v3, v1, v3
	s_delay_alu instid0(VALU_DEP_1) | instskip(SKIP_3) | instid1(VALU_DEP_1)
	v_cndmask_b32_e64 v1, v1, v3, s4
	ds_bpermute_b32 v3, v8, v1
	s_wait_dscnt 0x0
	v_dual_add_f32 v11, v1, v3 :: v_dual_lshlrev_b32 v3, 2, v2
	v_dual_cndmask_b32 v1, v1, v11, s5 :: v_dual_bitop2_b32 v11, 32, v2 bitop3:0x54
	ds_bpermute_b32 v10, v3, v1 offset:128
	v_cmp_lt_u32_e64 s8, v11, v9
	s_wait_dscnt 0x0
	v_add_f32_e32 v10, v1, v10
	s_delay_alu instid0(VALU_DEP_1)
	v_cndmask_b32_e64 v1, v1, v10, s8
	s_and_saveexec_b32 s7, s6
; %bb.43:
	v_lshrrev_b32_e32 v9, 4, v0
	s_delay_alu instid0(VALU_DEP_1)
	v_and_b32_e32 v9, 60, v9
	ds_store_b32 v9, v1
; %bb.44:
	s_or_b32 exec_lo, exec_lo, s7
	v_cmp_gt_u32_e64 s7, 16, v0
	s_wait_storecnt_dscnt 0x0
	s_barrier_signal -1
	s_barrier_wait -1
	s_and_saveexec_b32 s17, s7
	s_cbranch_execz .LBB11_46
; %bb.45:
	ds_load_b32 v1, v3
	v_and_b32_e32 v9, 15, v2
	s_add_co_i32 s9, s16, 63
	s_delay_alu instid0(SALU_CYCLE_1) | instskip(NEXT) | instid1(VALU_DEP_1)
	s_lshr_b32 s29, s9, 6
	v_cmp_ne_u32_e32 vcc_lo, 15, v9
	v_add_nc_u32_e32 v12, 1, v9
	v_add_co_ci_u32_e64 v10, null, 0, v2, vcc_lo
	v_cmp_gt_u32_e32 vcc_lo, 14, v9
	s_delay_alu instid0(VALU_DEP_2)
	v_lshlrev_b32_e32 v10, 2, v10
	v_cndmask_b32_e64 v11, 0, 2, vcc_lo
	v_cmp_gt_u32_e32 vcc_lo, s29, v12
	s_wait_dscnt 0x0
	ds_bpermute_b32 v10, v10, v1
	v_add_lshl_u32 v11, v11, v2, 2
	s_wait_dscnt 0x0
	v_add_f32_e32 v10, v1, v10
	s_delay_alu instid0(VALU_DEP_1)
	v_cndmask_b32_e32 v10, v1, v10, vcc_lo
	ds_bpermute_b32 v11, v11, v10
	s_wait_dscnt 0x0
	v_add_f32_e32 v11, v10, v11
	v_cmp_gt_u32_e64 s9, 12, v9
	v_add_nc_u32_e32 v13, 2, v9
	s_delay_alu instid0(VALU_DEP_2) | instskip(NEXT) | instid1(VALU_DEP_2)
	v_cndmask_b32_e64 v12, 0, 4, s9
	v_cmp_gt_u32_e64 s9, s29, v13
	s_delay_alu instid0(VALU_DEP_2) | instskip(NEXT) | instid1(VALU_DEP_2)
	v_add_lshl_u32 v12, v12, v2, 2
	v_cndmask_b32_e64 v10, v10, v11, s9
	ds_bpermute_b32 v11, v12, v10
	v_dual_add_nc_u32 v12, 4, v9 :: v_dual_add_nc_u32 v9, 8, v9
	s_delay_alu instid0(VALU_DEP_1) | instskip(SKIP_2) | instid1(VALU_DEP_1)
	v_cmp_gt_u32_e64 s9, s29, v12
	s_wait_dscnt 0x0
	v_add_f32_e32 v11, v10, v11
	v_cndmask_b32_e64 v10, v10, v11, s9
	v_or_b32_e32 v11, 32, v3
	v_cmp_gt_u32_e64 s9, s29, v9
	ds_bpermute_b32 v11, v11, v10
	s_wait_dscnt 0x0
	v_add_f32_e32 v11, v10, v11
	s_delay_alu instid0(VALU_DEP_1) | instskip(NEXT) | instid1(VALU_DEP_1)
	v_cndmask_b32_e64 v9, v10, v11, s9
	v_cndmask_b32_e32 v1, v1, v9, vcc_lo
.LBB11_46:
	s_or_b32 exec_lo, exec_lo, s17
	v_cmp_eq_u32_e64 s9, 0, v0
	s_and_saveexec_b32 s17, s9
	s_cbranch_execz .LBB11_48
; %bb.47:
	s_cvt_f32_i32 s23, s23
	s_delay_alu instid0(SALU_CYCLE_3) | instskip(SKIP_1) | instid1(VALU_DEP_2)
	v_div_scale_f32 v9, null, s23, s23, v1
	v_div_scale_f32 v12, vcc_lo, v1, s23, v1
	v_rcp_f32_e32 v10, v9
	v_nop
	s_delay_alu instid0(TRANS32_DEP_1) | instskip(NEXT) | instid1(VALU_DEP_1)
	v_fma_f32 v11, -v9, v10, 1.0
	v_fmac_f32_e32 v10, v11, v10
	s_delay_alu instid0(VALU_DEP_1) | instskip(NEXT) | instid1(VALU_DEP_1)
	v_mul_f32_e32 v11, v12, v10
	v_fma_f32 v13, -v9, v11, v12
	s_delay_alu instid0(VALU_DEP_1) | instskip(NEXT) | instid1(VALU_DEP_1)
	v_fmac_f32_e32 v11, v13, v10
	v_fma_f32 v9, -v9, v11, v12
	s_delay_alu instid0(VALU_DEP_1) | instskip(NEXT) | instid1(VALU_DEP_1)
	v_div_fmas_f32 v9, v9, v10, v11
	v_div_fixup_f32 v1, v9, s23, v1
	s_delay_alu instid0(VALU_DEP_1) | instskip(NEXT) | instid1(VALU_DEP_1)
	v_add_f32_e32 v1, s22, v1
	v_mul_f32_e32 v9, 0x4b800000, v1
	v_cmp_gt_f32_e32 vcc_lo, 0x800000, v1
	s_delay_alu instid0(VALU_DEP_2) | instskip(NEXT) | instid1(VALU_DEP_1)
	v_cndmask_b32_e32 v1, v1, v9, vcc_lo
	v_rsq_f32_e32 v1, v1
	v_nop
	s_delay_alu instid0(TRANS32_DEP_1) | instskip(NEXT) | instid1(VALU_DEP_1)
	v_mul_f32_e32 v9, 0x45800000, v1
	v_dual_cndmask_b32 v1, v1, v9, vcc_lo :: v_dual_mov_b32 v9, 0
	ds_store_b32 v9, v1 offset:256
.LBB11_48:
	s_or_b32 exec_lo, exec_lo, s17
	v_mov_b32_e32 v9, 0
	s_wait_dscnt 0x0
	s_barrier_signal -1
	s_barrier_wait -1
	ds_load_b32 v1, v9 offset:256
	s_and_saveexec_b32 s17, s2
	s_cbranch_execz .LBB11_58
; %bb.49:
	v_dual_mov_b32 v9, 0 :: v_dual_mov_b32 v10, v0
	s_lshl_b32 s22, s16, 1
	s_mul_i32 s29, s16, 3
	s_mov_b32 s23, 0
	s_add_co_i32 s30, s16, s16
                                        ; implicit-def: $sgpr31
	s_branch .LBB11_53
.LBB11_50:                              ;   in Loop: Header=BB11_53 Depth=1
	s_or_b32 exec_lo, exec_lo, s35
	s_delay_alu instid0(SALU_CYCLE_1)
	s_or_not1_b32 s35, s36, exec_lo
.LBB11_51:                              ;   in Loop: Header=BB11_53 Depth=1
	s_or_b32 exec_lo, exec_lo, s34
	s_delay_alu instid0(SALU_CYCLE_1) | instskip(SKIP_1) | instid1(SALU_CYCLE_1)
	s_and_not1_b32 s31, s31, exec_lo
	s_and_b32 s34, s35, exec_lo
	s_or_b32 s31, s31, s34
.LBB11_52:                              ;   in Loop: Header=BB11_53 Depth=1
	s_or_b32 exec_lo, exec_lo, s33
	s_delay_alu instid0(SALU_CYCLE_1) | instskip(NEXT) | instid1(SALU_CYCLE_1)
	s_and_b32 s33, exec_lo, s31
	s_or_b32 s23, s33, s23
	s_delay_alu instid0(SALU_CYCLE_1)
	s_and_not1_b32 exec_lo, exec_lo, s23
	s_cbranch_execz .LBB11_57
.LBB11_53:                              ; =>This Inner Loop Header: Depth=1
	s_clause 0x1
	global_load_b64 v[12:13], v10, s[18:19] scale_offset
	global_load_b64 v[14:15], v10, s[10:11] scale_offset
	s_or_b32 s31, s31, exec_lo
	s_mov_b32 s33, exec_lo
	s_wait_loadcnt 0x1
	v_dual_lshrrev_b32 v11, 16, v12 :: v_dual_lshrrev_b32 v17, 16, v13
	s_wait_loadcnt_dscnt 0x0
	v_fma_mixlo_f16 v16, v1, v14, 0 op_sel_hi:[0,1,0]
	v_fma_mixlo_f16 v14, v1, v14, 0 op_sel:[0,1,0] op_sel_hi:[0,1,0]
	v_fma_mixlo_f16 v18, v1, v15, 0 op_sel_hi:[0,1,0]
	v_fma_mixlo_f16 v15, v1, v15, 0 op_sel:[0,1,0] op_sel_hi:[0,1,0]
	s_delay_alu instid0(VALU_DEP_4) | instskip(NEXT) | instid1(VALU_DEP_4)
	v_mul_f16_e32 v12, v12, v16
	v_mul_f16_e32 v11, v11, v14
	s_delay_alu instid0(VALU_DEP_4) | instskip(NEXT) | instid1(VALU_DEP_4)
	v_mul_f16_e32 v13, v13, v18
	v_mul_f16_e32 v14, v17, v15
	s_delay_alu instid0(VALU_DEP_4) | instskip(NEXT) | instid1(VALU_DEP_4)
	v_cvt_f32_f16_e64 v12, |v12|
	v_cvt_f32_f16_e64 v11, |v11|
	s_delay_alu instid0(VALU_DEP_4) | instskip(NEXT) | instid1(VALU_DEP_4)
	v_cvt_f32_f16_e64 v13, |v13|
	v_cvt_f32_f16_e64 v14, |v14|
	s_delay_alu instid0(VALU_DEP_3) | instskip(SKIP_1) | instid1(VALU_DEP_2)
	v_max3_num_f32 v9, v9, v12, v11
	v_add_nc_u32_e32 v11, s16, v10
	v_max3_num_f32 v9, v9, v13, v14
	s_delay_alu instid0(VALU_DEP_2)
	v_cmpx_gt_u32_e64 s28, v11
	s_cbranch_execz .LBB11_52
; %bb.54:                               ;   in Loop: Header=BB11_53 Depth=1
	s_clause 0x1
	global_load_b64 v[12:13], v11, s[18:19] scale_offset
	global_load_b64 v[14:15], v11, s[10:11] scale_offset
	s_mov_b32 s35, -1
	s_mov_b32 s34, exec_lo
	s_wait_loadcnt 0x1
	v_dual_lshrrev_b32 v16, 16, v12 :: v_dual_lshrrev_b32 v18, 16, v13
	s_wait_loadcnt 0x0
	v_fma_mixlo_f16 v17, v1, v14, 0 op_sel_hi:[0,1,0]
	v_fma_mixlo_f16 v14, v1, v14, 0 op_sel:[0,1,0] op_sel_hi:[0,1,0]
	v_fma_mixlo_f16 v19, v1, v15, 0 op_sel_hi:[0,1,0]
	v_fma_mixlo_f16 v15, v1, v15, 0 op_sel:[0,1,0] op_sel_hi:[0,1,0]
	s_delay_alu instid0(VALU_DEP_4) | instskip(NEXT) | instid1(VALU_DEP_4)
	v_mul_f16_e32 v12, v12, v17
	v_mul_f16_e32 v14, v16, v14
	s_delay_alu instid0(VALU_DEP_4) | instskip(NEXT) | instid1(VALU_DEP_4)
	v_mul_f16_e32 v13, v13, v19
	v_mul_f16_e32 v15, v18, v15
	s_delay_alu instid0(VALU_DEP_4) | instskip(NEXT) | instid1(VALU_DEP_4)
	v_cvt_f32_f16_e64 v12, |v12|
	v_cvt_f32_f16_e64 v14, |v14|
	s_delay_alu instid0(VALU_DEP_4) | instskip(NEXT) | instid1(VALU_DEP_4)
	v_cvt_f32_f16_e64 v13, |v13|
	v_cvt_f32_f16_e64 v15, |v15|
	s_delay_alu instid0(VALU_DEP_3) | instskip(SKIP_1) | instid1(VALU_DEP_2)
	v_max3_num_f32 v9, v9, v12, v14
	v_add_nc_u32_e32 v12, s22, v10
	v_max3_num_f32 v9, v9, v13, v15
	s_delay_alu instid0(VALU_DEP_2)
	v_cmpx_gt_u32_e64 s28, v12
	s_cbranch_execz .LBB11_51
; %bb.55:                               ;   in Loop: Header=BB11_53 Depth=1
	s_clause 0x1
	global_load_b64 v[14:15], v12, s[18:19] scale_offset
	global_load_b64 v[16:17], v12, s[10:11] scale_offset
	s_mov_b32 s36, -1
	s_mov_b32 s35, exec_lo
	s_wait_loadcnt 0x1
	s_wait_xcnt 0x0
	v_dual_lshrrev_b32 v12, 16, v14 :: v_dual_lshrrev_b32 v18, 16, v15
	s_wait_loadcnt 0x0
	v_fma_mixlo_f16 v13, v1, v16, 0 op_sel_hi:[0,1,0]
	v_fma_mixlo_f16 v16, v1, v16, 0 op_sel:[0,1,0] op_sel_hi:[0,1,0]
	v_fma_mixlo_f16 v19, v1, v17, 0 op_sel_hi:[0,1,0]
	v_fma_mixlo_f16 v17, v1, v17, 0 op_sel:[0,1,0] op_sel_hi:[0,1,0]
	s_delay_alu instid0(VALU_DEP_4) | instskip(NEXT) | instid1(VALU_DEP_4)
	v_mul_f16_e32 v13, v14, v13
	v_mul_f16_e32 v12, v12, v16
	s_delay_alu instid0(VALU_DEP_4) | instskip(NEXT) | instid1(VALU_DEP_4)
	v_mul_f16_e32 v14, v15, v19
	v_mul_f16_e32 v15, v18, v17
	s_delay_alu instid0(VALU_DEP_4) | instskip(NEXT) | instid1(VALU_DEP_4)
	v_cvt_f32_f16_e64 v13, |v13|
	v_cvt_f32_f16_e64 v12, |v12|
	s_delay_alu instid0(VALU_DEP_4) | instskip(NEXT) | instid1(VALU_DEP_4)
	v_cvt_f32_f16_e64 v14, |v14|
	v_cvt_f32_f16_e64 v15, |v15|
	s_delay_alu instid0(VALU_DEP_3) | instskip(SKIP_1) | instid1(VALU_DEP_2)
	v_max3_num_f32 v9, v9, v13, v12
	v_add_nc_u32_e32 v12, s29, v10
                                        ; implicit-def: $vgpr10
	v_max3_num_f32 v9, v9, v14, v15
	s_delay_alu instid0(VALU_DEP_2)
	v_cmpx_gt_u32_e64 s28, v12
	s_xor_b32 s35, exec_lo, s35
	s_cbranch_execz .LBB11_50
; %bb.56:                               ;   in Loop: Header=BB11_53 Depth=1
	s_clause 0x1
	global_load_b64 v[14:15], v12, s[18:19] scale_offset
	global_load_b64 v[16:17], v12, s[10:11] scale_offset
	s_wait_loadcnt 0x1
	v_lshrrev_b32_e32 v10, 16, v14
	s_wait_loadcnt 0x0
	v_fma_mixlo_f16 v12, v1, v16, 0 op_sel_hi:[0,1,0]
	v_fma_mixlo_f16 v13, v1, v16, 0 op_sel:[0,1,0] op_sel_hi:[0,1,0]
	v_lshrrev_b32_e32 v16, 16, v15
	v_fma_mixlo_f16 v18, v1, v17, 0 op_sel_hi:[0,1,0]
	s_delay_alu instid0(VALU_DEP_4) | instskip(NEXT) | instid1(VALU_DEP_4)
	v_mul_f16_e32 v12, v14, v12
	v_mul_f16_e32 v10, v10, v13
	v_fma_mixlo_f16 v13, v1, v17, 0 op_sel:[0,1,0] op_sel_hi:[0,1,0]
	s_delay_alu instid0(VALU_DEP_4) | instskip(NEXT) | instid1(VALU_DEP_4)
	v_mul_f16_e32 v14, v15, v18
	v_cvt_f32_f16_e64 v12, |v12|
	s_delay_alu instid0(VALU_DEP_4) | instskip(NEXT) | instid1(VALU_DEP_4)
	v_cvt_f32_f16_e64 v15, |v10|
	v_mul_f16_e32 v13, v16, v13
	v_add3_u32 v10, s30, s16, v11
	v_cvt_f32_f16_e64 v11, |v14|
	s_delay_alu instid0(VALU_DEP_4) | instskip(NEXT) | instid1(VALU_DEP_4)
	v_max3_num_f32 v9, v9, v12, v15
	v_cvt_f32_f16_e64 v12, |v13|
	s_delay_alu instid0(VALU_DEP_4) | instskip(NEXT) | instid1(VALU_DEP_2)
	v_cmp_le_u32_e32 vcc_lo, s28, v10
	v_max3_num_f32 v9, v9, v11, v12
	s_or_not1_b32 s36, vcc_lo, exec_lo
	s_branch .LBB11_50
.LBB11_57:
	s_or_b32 exec_lo, exec_lo, s23
.LBB11_58:
	s_delay_alu instid0(SALU_CYCLE_1)
	s_or_b32 exec_lo, exec_lo, s17
	ds_bpermute_b32 v4, v4, v9
	v_or_b32_e32 v10, 0x80, v3
	s_wait_dscnt 0x0
	v_cmp_lt_f32_e32 vcc_lo, v9, v4
	v_cndmask_b32_e32 v4, v9, v4, vcc_lo
	s_delay_alu instid0(VALU_DEP_1) | instskip(SKIP_1) | instid1(SALU_CYCLE_1)
	v_cndmask_b32_e64 v4, v9, v4, s0
	s_or_b32 s0, s0, s1
	s_or_b32 s0, s3, s0
	s_delay_alu instid0(SALU_CYCLE_1)
	s_or_b32 s0, s4, s0
	ds_bpermute_b32 v5, v5, v4
	s_or_b32 s0, s5, s0
	s_wait_dscnt 0x0
	v_cmp_lt_f32_e32 vcc_lo, v4, v5
	v_cndmask_b32_e32 v5, v4, v5, vcc_lo
	s_delay_alu instid0(VALU_DEP_1) | instskip(SKIP_4) | instid1(VALU_DEP_1)
	v_cndmask_b32_e64 v4, v4, v5, s1
	ds_bpermute_b32 v5, v6, v4
	s_wait_dscnt 0x0
	v_cmp_lt_f32_e32 vcc_lo, v4, v5
	v_cndmask_b32_e32 v5, v4, v5, vcc_lo
	v_cndmask_b32_e64 v4, v4, v5, s3
	ds_bpermute_b32 v5, v7, v4
	s_wait_dscnt 0x0
	v_cmp_lt_f32_e32 vcc_lo, v4, v5
	v_cndmask_b32_e32 v5, v4, v5, vcc_lo
	s_delay_alu instid0(VALU_DEP_1) | instskip(SKIP_4) | instid1(VALU_DEP_1)
	v_cndmask_b32_e64 v4, v4, v5, s4
	ds_bpermute_b32 v5, v8, v4
	s_wait_dscnt 0x0
	v_cmp_lt_f32_e32 vcc_lo, v4, v5
	v_cndmask_b32_e32 v5, v4, v5, vcc_lo
	v_cndmask_b32_e64 v4, v4, v5, s5
	ds_bpermute_b32 v5, v10, v4
	s_wait_dscnt 0x0
	v_cmp_lt_f32_e32 vcc_lo, v4, v5
	s_and_b32 vcc_lo, s8, vcc_lo
	v_cndmask_b32_e32 v4, v4, v5, vcc_lo
	s_or_b32 vcc_lo, s8, s0
	s_delay_alu instid0(VALU_DEP_1)
	v_cndmask_b32_e32 v4, v9, v4, vcc_lo
	s_and_saveexec_b32 s0, s6
; %bb.59:
	v_lshrrev_b32_e32 v5, 4, v0
	s_delay_alu instid0(VALU_DEP_1)
	v_and_b32_e32 v5, 60, v5
	ds_store_b32 v5, v4 offset:64
; %bb.60:
	s_or_b32 exec_lo, exec_lo, s0
	s_wait_dscnt 0x0
	s_barrier_signal -1
	s_barrier_wait -1
	s_and_saveexec_b32 s3, s7
	s_cbranch_execz .LBB11_62
; %bb.61:
	ds_load_b32 v4, v3 offset:64
	v_and_b32_e32 v5, 15, v2
	s_add_co_i32 s0, s16, 63
	v_or_b32_e32 v3, 32, v3
	s_lshr_b32 s1, s0, 6
	s_delay_alu instid0(VALU_DEP_2) | instskip(SKIP_4) | instid1(VALU_DEP_3)
	v_cmp_ne_u32_e32 vcc_lo, 15, v5
	v_add_nc_u32_e32 v7, 1, v5
	v_cmp_gt_u32_e64 s0, 12, v5
	v_add_co_ci_u32_e64 v6, null, 0, v2, vcc_lo
	v_cmp_gt_u32_e32 vcc_lo, 14, v5
	v_cndmask_b32_e64 v9, 0, 4, s0
	s_delay_alu instid0(VALU_DEP_3)
	v_lshlrev_b32_e32 v6, 2, v6
	v_cndmask_b32_e64 v8, 0, 2, vcc_lo
	s_wait_dscnt 0x0
	ds_bpermute_b32 v6, v6, v4
	v_add_lshl_u32 v8, v8, v2, 2
	v_add_lshl_u32 v2, v9, v2, 2
	s_wait_dscnt 0x0
	v_cmp_lt_f32_e32 vcc_lo, v4, v6
	v_cndmask_b32_e32 v6, v4, v6, vcc_lo
	v_cmp_gt_u32_e32 vcc_lo, s1, v7
	s_delay_alu instid0(VALU_DEP_2) | instskip(SKIP_3) | instid1(VALU_DEP_1)
	v_cndmask_b32_e32 v6, v4, v6, vcc_lo
	ds_bpermute_b32 v7, v8, v6
	s_wait_dscnt 0x0
	v_cmp_lt_f32_e64 s0, v6, v7
	v_dual_cndmask_b32 v7, v6, v7, s0 :: v_dual_add_nc_u32 v8, 2, v5
	s_delay_alu instid0(VALU_DEP_1) | instskip(NEXT) | instid1(VALU_DEP_1)
	v_cmp_gt_u32_e64 s0, s1, v8
	v_dual_cndmask_b32 v6, v6, v7, s0 :: v_dual_add_nc_u32 v7, 4, v5
	v_add_nc_u32_e32 v5, 8, v5
	ds_bpermute_b32 v2, v2, v6
	s_wait_dscnt 0x0
	v_cmp_lt_f32_e64 s0, v6, v2
	s_delay_alu instid0(VALU_DEP_1) | instskip(SKIP_1) | instid1(VALU_DEP_1)
	v_cndmask_b32_e64 v2, v6, v2, s0
	v_cmp_gt_u32_e64 s0, s1, v7
	v_cndmask_b32_e64 v2, v6, v2, s0
	v_cmp_gt_u32_e64 s0, s1, v5
	ds_bpermute_b32 v3, v3, v2
	s_wait_dscnt 0x0
	v_cmp_lt_f32_e64 s1, v2, v3
	s_and_b32 s0, s0, s1
	s_delay_alu instid0(SALU_CYCLE_1) | instskip(NEXT) | instid1(VALU_DEP_1)
	v_cndmask_b32_e64 v2, v2, v3, s0
	v_cndmask_b32_e32 v4, v4, v2, vcc_lo
.LBB11_62:
	s_or_b32 exec_lo, exec_lo, s3
	s_and_saveexec_b32 s0, s9
	s_cbranch_execz .LBB11_66
; %bb.63:
	s_cmp_eq_u64 s[20:21], 0
	s_cbranch_scc1 .LBB11_65
; %bb.64:
	v_dual_mov_b32 v2, 0 :: v_dual_max_num_f32 v3, v4, v4
	global_load_b32 v2, v2, s[20:21]
	s_wait_loadcnt 0x0
	v_max_num_f32_e32 v2, v2, v2
	s_delay_alu instid0(VALU_DEP_1)
	v_min_num_f32_e32 v4, v3, v2
.LBB11_65:
	s_delay_alu instid0(VALU_DEP_1)
	v_div_scale_f32 v2, null, 0x42fe0000, 0x42fe0000, v4
	v_div_scale_f32 v6, vcc_lo, v4, 0x42fe0000, v4
	s_lshl_b64 s[4:5], s[26:27], 2
	v_rcp_f32_e32 v3, v2
	s_add_nc_u64 s[4:5], s[14:15], s[4:5]
	v_nop
	s_delay_alu instid0(TRANS32_DEP_1) | instskip(NEXT) | instid1(VALU_DEP_1)
	v_fma_f32 v5, -v2, v3, 1.0
	v_fmac_f32_e32 v3, v5, v3
	s_delay_alu instid0(VALU_DEP_1) | instskip(NEXT) | instid1(VALU_DEP_1)
	v_mul_f32_e32 v5, v6, v3
	v_fma_f32 v7, -v2, v5, v6
	s_delay_alu instid0(VALU_DEP_1) | instskip(NEXT) | instid1(VALU_DEP_1)
	v_fmac_f32_e32 v5, v7, v3
	v_fma_f32 v2, -v2, v5, v6
	s_delay_alu instid0(VALU_DEP_1) | instskip(SKIP_1) | instid1(VALU_DEP_2)
	v_div_fmas_f32 v2, v2, v3, v5
	v_mov_b32_e32 v3, 0
	v_div_fixup_f32 v2, v2, 0x42fe0000, v4
	s_delay_alu instid0(VALU_DEP_1)
	v_max_num_f32_e32 v2, 0x34000000, v2
	ds_store_b32 v3, v2 offset:260
	global_store_b32 v3, v2, s[4:5]
.LBB11_66:
	s_wait_xcnt 0x0
	s_or_b32 exec_lo, exec_lo, s0
	s_wait_storecnt_dscnt 0x0
	s_barrier_signal -1
	s_barrier_wait -1
	s_and_saveexec_b32 s0, s2
	s_cbranch_execz .LBB11_75
; %bb.67:
	v_mov_b32_e32 v2, 0
	s_add_nc_u64 s[0:1], s[12:13], s[24:25]
	s_lshl_b32 s2, s16, 1
	s_mul_i32 s3, s16, 3
	s_mov_b32 s4, 0
	ds_load_b32 v2, v2 offset:260
	s_add_co_i32 s5, s16, s16
                                        ; implicit-def: $sgpr6
	s_wait_dscnt 0x0
	v_div_scale_f32 v3, null, v2, v2, 1.0
	v_div_scale_f32 v6, vcc_lo, 1.0, v2, 1.0
	s_delay_alu instid0(VALU_DEP_2)
	v_rcp_f32_e32 v4, v3
	v_nop
	v_xor_b32_e32 v3, 0x80000000, v3
	s_delay_alu instid0(TRANS32_DEP_1) | instid1(VALU_DEP_1)
	v_fma_f32 v5, v3, v4, 1.0
	s_delay_alu instid0(VALU_DEP_1) | instskip(NEXT) | instid1(VALU_DEP_1)
	v_fmac_f32_e32 v4, v5, v4
	v_mul_f32_e32 v5, v6, v4
	s_delay_alu instid0(VALU_DEP_1) | instskip(NEXT) | instid1(VALU_DEP_1)
	v_fma_f32 v7, v3, v5, v6
	v_fmac_f32_e32 v5, v7, v4
	s_delay_alu instid0(VALU_DEP_1) | instskip(NEXT) | instid1(VALU_DEP_1)
	v_fmac_f32_e32 v6, v3, v5
	v_div_fmas_f32 v3, v6, v4, v5
	s_delay_alu instid0(VALU_DEP_1)
	v_div_fixup_f32 v2, v3, v2, 1.0
	s_branch .LBB11_71
.LBB11_68:                              ;   in Loop: Header=BB11_71 Depth=1
	s_wait_xcnt 0x0
	s_or_b32 exec_lo, exec_lo, s9
	s_delay_alu instid0(SALU_CYCLE_1)
	s_or_not1_b32 s9, s12, exec_lo
.LBB11_69:                              ;   in Loop: Header=BB11_71 Depth=1
	s_or_b32 exec_lo, exec_lo, s8
	s_delay_alu instid0(SALU_CYCLE_1) | instskip(SKIP_1) | instid1(SALU_CYCLE_1)
	s_and_not1_b32 s6, s6, exec_lo
	s_and_b32 s8, s9, exec_lo
	s_or_b32 s6, s6, s8
.LBB11_70:                              ;   in Loop: Header=BB11_71 Depth=1
	s_or_b32 exec_lo, exec_lo, s7
	s_delay_alu instid0(SALU_CYCLE_1) | instskip(NEXT) | instid1(SALU_CYCLE_1)
	s_and_b32 s7, exec_lo, s6
	s_or_b32 s4, s7, s4
	s_delay_alu instid0(SALU_CYCLE_1)
	s_and_not1_b32 exec_lo, exec_lo, s4
	s_cbranch_execz .LBB11_75
.LBB11_71:                              ; =>This Inner Loop Header: Depth=1
	s_clause 0x1
	global_load_b64 v[4:5], v0, s[10:11] scale_offset
	global_load_b64 v[6:7], v0, s[18:19] scale_offset
	s_or_b32 s6, s6, exec_lo
	s_mov_b32 s7, exec_lo
	s_wait_loadcnt 0x1
	v_fma_mixlo_f16 v3, v1, v5, 0 op_sel_hi:[0,1,0]
	s_wait_loadcnt 0x0
	v_lshrrev_b32_e32 v8, 16, v6
	v_fma_mixlo_f16 v9, v1, v4, 0 op_sel:[0,1,0] op_sel_hi:[0,1,0]
	v_fma_mixlo_f16 v4, v1, v4, 0 op_sel_hi:[0,1,0]
	v_fma_mixlo_f16 v5, v1, v5, 0 op_sel:[0,1,0] op_sel_hi:[0,1,0]
	v_mul_f16_e32 v3, v7, v3
	v_lshrrev_b32_e32 v7, 16, v7
	v_mul_f16_e32 v8, v8, v9
	v_mul_f16_e32 v4, v6, v4
	s_delay_alu instid0(VALU_DEP_4) | instskip(NEXT) | instid1(VALU_DEP_4)
	v_cvt_f32_f16_e32 v3, v3
	v_mul_f16_e32 v5, v7, v5
	s_delay_alu instid0(VALU_DEP_4) | instskip(NEXT) | instid1(VALU_DEP_4)
	v_cvt_f32_f16_e32 v6, v8
	v_cvt_f32_f16_e32 v4, v4
	s_delay_alu instid0(VALU_DEP_4) | instskip(NEXT) | instid1(VALU_DEP_4)
	v_mul_f32_e32 v3, v2, v3
	v_cvt_f32_f16_e32 v5, v5
	s_delay_alu instid0(VALU_DEP_3) | instskip(NEXT) | instid1(VALU_DEP_3)
	v_dual_mul_f32 v6, v2, v6 :: v_dual_mul_f32 v4, v2, v4
	v_rndne_f32_e32 v3, v3
	s_delay_alu instid0(VALU_DEP_3) | instskip(NEXT) | instid1(VALU_DEP_3)
	v_mul_f32_e32 v5, v2, v5
	v_rndne_f32_e32 v6, v6
	s_delay_alu instid0(VALU_DEP_4) | instskip(NEXT) | instid1(VALU_DEP_4)
	v_rndne_f32_e32 v4, v4
	v_cmp_nlt_f32_e32 vcc_lo, 0x42fe0000, v3
	s_delay_alu instid0(VALU_DEP_4) | instskip(SKIP_4) | instid1(VALU_DEP_4)
	v_rndne_f32_e32 v5, v5
	v_cndmask_b32_e32 v7, 0x42fe0000, v3, vcc_lo
	v_cmp_nlt_f32_e32 vcc_lo, 0x42fe0000, v6
	v_cndmask_b32_e32 v8, 0x42fe0000, v6, vcc_lo
	v_cmp_ngt_f32_e32 vcc_lo, 0xc3000000, v3
	v_cndmask_b32_e32 v3, 0xc3000000, v7, vcc_lo
	v_cmp_nlt_f32_e32 vcc_lo, 0x42fe0000, v5
	s_delay_alu instid0(VALU_DEP_2) | instskip(SKIP_2) | instid1(VALU_DEP_3)
	v_cvt_i32_f32_e32 v3, v3
	v_cndmask_b32_e32 v7, 0x42fe0000, v5, vcc_lo
	v_cmp_ngt_f32_e32 vcc_lo, 0xc3000000, v6
	v_and_b32_e32 v3, 0xff, v3
	s_delay_alu instid0(VALU_DEP_1) | instskip(SKIP_1) | instid1(VALU_DEP_2)
	v_dual_cndmask_b32 v6, 0xc3000000, v8 :: v_dual_lshlrev_b32 v3, 16, v3
	v_cmp_nlt_f32_e32 vcc_lo, 0x42fe0000, v4
	v_cvt_i32_f32_e32 v6, v6
	v_cndmask_b32_e32 v8, 0x42fe0000, v4, vcc_lo
	v_cmp_ngt_f32_e32 vcc_lo, 0xc3000000, v5
	s_delay_alu instid0(VALU_DEP_3) | instskip(SKIP_2) | instid1(VALU_DEP_3)
	v_and_b32_e32 v6, 0xff, v6
	v_cndmask_b32_e32 v5, 0xc3000000, v7, vcc_lo
	v_cmp_ngt_f32_e32 vcc_lo, 0xc3000000, v4
	v_lshlrev_b32_e32 v6, 8, v6
	s_delay_alu instid0(VALU_DEP_3) | instskip(SKIP_1) | instid1(VALU_DEP_2)
	v_cvt_i32_f32_e32 v5, v5
	v_cndmask_b32_e32 v4, 0xc3000000, v8, vcc_lo
	v_lshl_or_b32 v5, v5, 24, v3
	s_delay_alu instid0(VALU_DEP_2) | instskip(SKIP_1) | instid1(VALU_DEP_2)
	v_cvt_i32_f32_e32 v4, v4
	v_add_nc_u32_e32 v3, s16, v0
	v_and_b32_e32 v4, 0xff, v4
	s_delay_alu instid0(VALU_DEP_1)
	v_or3_b32 v4, v5, v6, v4
	global_store_b32 v0, v4, s[0:1] scale_offset
	s_wait_xcnt 0x0
	v_cmpx_gt_u32_e64 s28, v3
	s_cbranch_execz .LBB11_70
; %bb.72:                               ;   in Loop: Header=BB11_71 Depth=1
	s_clause 0x1
	global_load_b64 v[4:5], v3, s[10:11] scale_offset
	global_load_b64 v[6:7], v3, s[18:19] scale_offset
	s_mov_b32 s9, -1
	s_mov_b32 s8, exec_lo
	s_wait_loadcnt 0x1
	v_fma_mixlo_f16 v8, v1, v5, 0 op_sel_hi:[0,1,0]
	s_wait_loadcnt 0x0
	v_lshrrev_b32_e32 v9, 16, v6
	v_fma_mixlo_f16 v10, v1, v4, 0 op_sel:[0,1,0] op_sel_hi:[0,1,0]
	v_fma_mixlo_f16 v4, v1, v4, 0 op_sel_hi:[0,1,0]
	v_fma_mixlo_f16 v5, v1, v5, 0 op_sel:[0,1,0] op_sel_hi:[0,1,0]
	v_mul_f16_e32 v8, v7, v8
	v_lshrrev_b32_e32 v7, 16, v7
	v_mul_f16_e32 v9, v9, v10
	v_mul_f16_e32 v4, v6, v4
	s_delay_alu instid0(VALU_DEP_4) | instskip(NEXT) | instid1(VALU_DEP_4)
	v_cvt_f32_f16_e32 v6, v8
	v_mul_f16_e32 v5, v7, v5
	s_delay_alu instid0(VALU_DEP_4) | instskip(NEXT) | instid1(VALU_DEP_4)
	v_cvt_f32_f16_e32 v7, v9
	v_cvt_f32_f16_e32 v4, v4
	s_delay_alu instid0(VALU_DEP_4) | instskip(NEXT) | instid1(VALU_DEP_4)
	v_mul_f32_e32 v6, v2, v6
	v_cvt_f32_f16_e32 v5, v5
	s_delay_alu instid0(VALU_DEP_3) | instskip(NEXT) | instid1(VALU_DEP_3)
	v_dual_mul_f32 v7, v2, v7 :: v_dual_mul_f32 v4, v2, v4
	v_rndne_f32_e32 v6, v6
	s_delay_alu instid0(VALU_DEP_3) | instskip(NEXT) | instid1(VALU_DEP_3)
	v_mul_f32_e32 v5, v2, v5
	v_rndne_f32_e32 v7, v7
	s_delay_alu instid0(VALU_DEP_4) | instskip(NEXT) | instid1(VALU_DEP_4)
	v_rndne_f32_e32 v4, v4
	v_cmp_nlt_f32_e32 vcc_lo, 0x42fe0000, v6
	s_delay_alu instid0(VALU_DEP_4) | instskip(SKIP_4) | instid1(VALU_DEP_4)
	v_rndne_f32_e32 v5, v5
	v_cndmask_b32_e32 v8, 0x42fe0000, v6, vcc_lo
	v_cmp_nlt_f32_e32 vcc_lo, 0x42fe0000, v7
	v_cndmask_b32_e32 v9, 0x42fe0000, v7, vcc_lo
	v_cmp_ngt_f32_e32 vcc_lo, 0xc3000000, v6
	v_cndmask_b32_e32 v6, 0xc3000000, v8, vcc_lo
	v_cmp_nlt_f32_e32 vcc_lo, 0x42fe0000, v5
	s_delay_alu instid0(VALU_DEP_2) | instskip(SKIP_2) | instid1(VALU_DEP_3)
	v_cvt_i32_f32_e32 v6, v6
	v_cndmask_b32_e32 v8, 0x42fe0000, v5, vcc_lo
	v_cmp_ngt_f32_e32 vcc_lo, 0xc3000000, v7
	v_and_b32_e32 v6, 0xff, v6
	s_delay_alu instid0(VALU_DEP_1) | instskip(SKIP_1) | instid1(VALU_DEP_2)
	v_dual_cndmask_b32 v7, 0xc3000000, v9 :: v_dual_lshlrev_b32 v6, 16, v6
	v_cmp_nlt_f32_e32 vcc_lo, 0x42fe0000, v4
	v_cvt_i32_f32_e32 v7, v7
	v_cndmask_b32_e32 v9, 0x42fe0000, v4, vcc_lo
	v_cmp_ngt_f32_e32 vcc_lo, 0xc3000000, v5
	s_delay_alu instid0(VALU_DEP_3) | instskip(SKIP_2) | instid1(VALU_DEP_3)
	v_and_b32_e32 v7, 0xff, v7
	v_cndmask_b32_e32 v5, 0xc3000000, v8, vcc_lo
	v_cmp_ngt_f32_e32 vcc_lo, 0xc3000000, v4
	v_lshlrev_b32_e32 v7, 8, v7
	s_delay_alu instid0(VALU_DEP_3) | instskip(SKIP_1) | instid1(VALU_DEP_2)
	v_cvt_i32_f32_e32 v5, v5
	v_cndmask_b32_e32 v4, 0xc3000000, v9, vcc_lo
	v_lshl_or_b32 v6, v5, 24, v6
	s_delay_alu instid0(VALU_DEP_2) | instskip(SKIP_1) | instid1(VALU_DEP_2)
	v_cvt_i32_f32_e32 v4, v4
	v_add_nc_u32_e32 v5, s2, v0
	v_and_b32_e32 v4, 0xff, v4
	s_delay_alu instid0(VALU_DEP_1)
	v_or3_b32 v4, v6, v7, v4
	global_store_b32 v3, v4, s[0:1] scale_offset
	s_wait_xcnt 0x0
	v_cmpx_gt_u32_e64 s28, v5
	s_cbranch_execz .LBB11_69
; %bb.73:                               ;   in Loop: Header=BB11_71 Depth=1
	s_clause 0x1
	global_load_b64 v[6:7], v5, s[10:11] scale_offset
	global_load_b64 v[8:9], v5, s[18:19] scale_offset
	s_mov_b32 s12, -1
	s_mov_b32 s9, exec_lo
	s_wait_loadcnt 0x1
	v_fma_mixlo_f16 v4, v1, v7, 0 op_sel_hi:[0,1,0]
	s_wait_loadcnt 0x0
	v_lshrrev_b32_e32 v10, 16, v8
	v_fma_mixlo_f16 v11, v1, v6, 0 op_sel:[0,1,0] op_sel_hi:[0,1,0]
	v_fma_mixlo_f16 v6, v1, v6, 0 op_sel_hi:[0,1,0]
	v_fma_mixlo_f16 v7, v1, v7, 0 op_sel:[0,1,0] op_sel_hi:[0,1,0]
	v_mul_f16_e32 v4, v9, v4
	v_lshrrev_b32_e32 v9, 16, v9
	v_mul_f16_e32 v10, v10, v11
	v_mul_f16_e32 v6, v8, v6
	s_delay_alu instid0(VALU_DEP_4) | instskip(NEXT) | instid1(VALU_DEP_4)
	v_cvt_f32_f16_e32 v4, v4
	v_mul_f16_e32 v7, v9, v7
	s_delay_alu instid0(VALU_DEP_4) | instskip(NEXT) | instid1(VALU_DEP_4)
	v_cvt_f32_f16_e32 v8, v10
	v_cvt_f32_f16_e32 v6, v6
	s_delay_alu instid0(VALU_DEP_4) | instskip(NEXT) | instid1(VALU_DEP_4)
	v_mul_f32_e32 v4, v2, v4
	v_cvt_f32_f16_e32 v7, v7
	s_delay_alu instid0(VALU_DEP_3) | instskip(NEXT) | instid1(VALU_DEP_3)
	v_dual_mul_f32 v8, v2, v8 :: v_dual_mul_f32 v6, v2, v6
	v_rndne_f32_e32 v4, v4
	s_delay_alu instid0(VALU_DEP_3) | instskip(NEXT) | instid1(VALU_DEP_3)
	v_mul_f32_e32 v7, v2, v7
	v_rndne_f32_e32 v8, v8
	s_delay_alu instid0(VALU_DEP_4) | instskip(NEXT) | instid1(VALU_DEP_4)
	v_rndne_f32_e32 v6, v6
	v_cmp_nlt_f32_e32 vcc_lo, 0x42fe0000, v4
	s_delay_alu instid0(VALU_DEP_4) | instskip(SKIP_4) | instid1(VALU_DEP_4)
	v_rndne_f32_e32 v7, v7
	v_cndmask_b32_e32 v9, 0x42fe0000, v4, vcc_lo
	v_cmp_nlt_f32_e32 vcc_lo, 0x42fe0000, v8
	v_cndmask_b32_e32 v10, 0x42fe0000, v8, vcc_lo
	v_cmp_ngt_f32_e32 vcc_lo, 0xc3000000, v4
	v_cndmask_b32_e32 v4, 0xc3000000, v9, vcc_lo
	v_cmp_nlt_f32_e32 vcc_lo, 0x42fe0000, v7
	s_delay_alu instid0(VALU_DEP_2) | instskip(SKIP_2) | instid1(VALU_DEP_3)
	v_cvt_i32_f32_e32 v4, v4
	v_cndmask_b32_e32 v9, 0x42fe0000, v7, vcc_lo
	v_cmp_ngt_f32_e32 vcc_lo, 0xc3000000, v8
	v_and_b32_e32 v4, 0xff, v4
	v_cndmask_b32_e32 v8, 0xc3000000, v10, vcc_lo
	v_cmp_nlt_f32_e32 vcc_lo, 0x42fe0000, v6
	s_delay_alu instid0(VALU_DEP_3) | instskip(NEXT) | instid1(VALU_DEP_3)
	v_lshlrev_b32_e32 v4, 16, v4
	v_cvt_i32_f32_e32 v8, v8
	v_cndmask_b32_e32 v10, 0x42fe0000, v6, vcc_lo
	v_cmp_ngt_f32_e32 vcc_lo, 0xc3000000, v7
	s_delay_alu instid0(VALU_DEP_3) | instskip(NEXT) | instid1(VALU_DEP_1)
	v_and_b32_e32 v8, 0xff, v8
	v_dual_cndmask_b32 v7, 0xc3000000, v9 :: v_dual_lshlrev_b32 v8, 8, v8
	v_cmp_ngt_f32_e32 vcc_lo, 0xc3000000, v6
	s_delay_alu instid0(VALU_DEP_2) | instskip(SKIP_1) | instid1(VALU_DEP_2)
	v_cvt_i32_f32_e32 v7, v7
	v_cndmask_b32_e32 v6, 0xc3000000, v10, vcc_lo
	v_lshl_or_b32 v7, v7, 24, v4
	s_delay_alu instid0(VALU_DEP_2) | instskip(SKIP_1) | instid1(VALU_DEP_2)
	v_cvt_i32_f32_e32 v6, v6
	v_add_nc_u32_e32 v4, s3, v0
	v_and_b32_e32 v6, 0xff, v6
	s_delay_alu instid0(VALU_DEP_1)
	v_or3_b32 v0, v7, v8, v6
	global_store_b32 v5, v0, s[0:1] scale_offset
                                        ; implicit-def: $vgpr0
	s_wait_xcnt 0x0
	v_cmpx_gt_u32_e64 s28, v4
	s_cbranch_execz .LBB11_68
; %bb.74:                               ;   in Loop: Header=BB11_71 Depth=1
	s_clause 0x1
	global_load_b64 v[6:7], v4, s[10:11] scale_offset
	global_load_b64 v[8:9], v4, s[18:19] scale_offset
	s_wait_loadcnt 0x1
	v_fma_mixlo_f16 v0, v1, v7, 0 op_sel_hi:[0,1,0]
	s_wait_loadcnt 0x0
	v_lshrrev_b32_e32 v5, 16, v8
	v_fma_mixlo_f16 v10, v1, v6, 0 op_sel:[0,1,0] op_sel_hi:[0,1,0]
	v_fma_mixlo_f16 v6, v1, v6, 0 op_sel_hi:[0,1,0]
	v_fma_mixlo_f16 v7, v1, v7, 0 op_sel:[0,1,0] op_sel_hi:[0,1,0]
	v_mul_f16_e32 v0, v9, v0
	v_lshrrev_b32_e32 v9, 16, v9
	v_mul_f16_e32 v5, v5, v10
	v_mul_f16_e32 v6, v8, v6
	s_delay_alu instid0(VALU_DEP_4) | instskip(NEXT) | instid1(VALU_DEP_4)
	v_cvt_f32_f16_e32 v0, v0
	v_mul_f16_e32 v7, v9, v7
	s_delay_alu instid0(VALU_DEP_4) | instskip(NEXT) | instid1(VALU_DEP_4)
	v_cvt_f32_f16_e32 v5, v5
	v_cvt_f32_f16_e32 v6, v6
	s_delay_alu instid0(VALU_DEP_4) | instskip(NEXT) | instid1(VALU_DEP_4)
	v_mul_f32_e32 v0, v2, v0
	v_cvt_f32_f16_e32 v7, v7
	s_delay_alu instid0(VALU_DEP_3) | instskip(NEXT) | instid1(VALU_DEP_3)
	v_dual_mul_f32 v5, v2, v5 :: v_dual_mul_f32 v6, v2, v6
	v_rndne_f32_e32 v0, v0
	s_delay_alu instid0(VALU_DEP_3) | instskip(NEXT) | instid1(VALU_DEP_3)
	v_mul_f32_e32 v7, v2, v7
	v_rndne_f32_e32 v5, v5
	s_delay_alu instid0(VALU_DEP_4) | instskip(NEXT) | instid1(VALU_DEP_4)
	v_rndne_f32_e32 v6, v6
	v_cmp_nlt_f32_e32 vcc_lo, 0x42fe0000, v0
	s_delay_alu instid0(VALU_DEP_4) | instskip(SKIP_4) | instid1(VALU_DEP_4)
	v_rndne_f32_e32 v7, v7
	v_cndmask_b32_e32 v8, 0x42fe0000, v0, vcc_lo
	v_cmp_nlt_f32_e32 vcc_lo, 0x42fe0000, v5
	v_cndmask_b32_e32 v9, 0x42fe0000, v5, vcc_lo
	v_cmp_ngt_f32_e32 vcc_lo, 0xc3000000, v0
	v_cndmask_b32_e32 v0, 0xc3000000, v8, vcc_lo
	v_cmp_nlt_f32_e32 vcc_lo, 0x42fe0000, v7
	s_delay_alu instid0(VALU_DEP_2) | instskip(SKIP_2) | instid1(VALU_DEP_3)
	v_cvt_i32_f32_e32 v0, v0
	v_cndmask_b32_e32 v8, 0x42fe0000, v7, vcc_lo
	v_cmp_ngt_f32_e32 vcc_lo, 0xc3000000, v5
	v_and_b32_e32 v0, 0xff, v0
	v_cndmask_b32_e32 v5, 0xc3000000, v9, vcc_lo
	v_cmp_nlt_f32_e32 vcc_lo, 0x42fe0000, v6
	s_delay_alu instid0(VALU_DEP_2) | instskip(SKIP_2) | instid1(VALU_DEP_3)
	v_cvt_i32_f32_e32 v5, v5
	v_cndmask_b32_e32 v9, 0x42fe0000, v6, vcc_lo
	v_cmp_ngt_f32_e32 vcc_lo, 0xc3000000, v7
	v_and_b32_e32 v5, 0xff, v5
	v_cndmask_b32_e32 v7, 0xc3000000, v8, vcc_lo
	v_cmp_ngt_f32_e32 vcc_lo, 0xc3000000, v6
	v_lshlrev_b32_e32 v8, 16, v0
	v_add3_u32 v0, s5, s16, v3
	v_lshlrev_b32_e32 v3, 8, v5
	v_cvt_i32_f32_e32 v7, v7
	v_cndmask_b32_e32 v6, 0xc3000000, v9, vcc_lo
	s_delay_alu instid0(VALU_DEP_4) | instskip(NEXT) | instid1(VALU_DEP_3)
	v_cmp_le_u32_e32 vcc_lo, s28, v0
	v_lshl_or_b32 v5, v7, 24, v8
	s_delay_alu instid0(VALU_DEP_3) | instskip(SKIP_1) | instid1(VALU_DEP_1)
	v_cvt_i32_f32_e32 v6, v6
	s_or_not1_b32 s12, vcc_lo, exec_lo
	v_and_b32_e32 v6, 0xff, v6
	s_delay_alu instid0(VALU_DEP_1)
	v_or3_b32 v3, v5, v3, v6
	global_store_b32 v4, v3, s[0:1] scale_offset
	s_branch .LBB11_68
.LBB11_75:
	s_endpgm
	.section	.rodata,"a",@progbits
	.p2align	6, 0x0
	.amdhsa_kernel _ZN4vllm39rms_norm_dynamic_per_token_quant_kernelIN3c104HalfEaLb0EEEvPT0_PfPKT_S8_PKffiPS6_
		.amdhsa_group_segment_fixed_size 272
		.amdhsa_private_segment_fixed_size 0
		.amdhsa_kernarg_size 312
		.amdhsa_user_sgpr_count 2
		.amdhsa_user_sgpr_dispatch_ptr 0
		.amdhsa_user_sgpr_queue_ptr 0
		.amdhsa_user_sgpr_kernarg_segment_ptr 1
		.amdhsa_user_sgpr_dispatch_id 0
		.amdhsa_user_sgpr_kernarg_preload_length 0
		.amdhsa_user_sgpr_kernarg_preload_offset 0
		.amdhsa_user_sgpr_private_segment_size 0
		.amdhsa_wavefront_size32 1
		.amdhsa_uses_dynamic_stack 0
		.amdhsa_enable_private_segment 0
		.amdhsa_system_sgpr_workgroup_id_x 1
		.amdhsa_system_sgpr_workgroup_id_y 0
		.amdhsa_system_sgpr_workgroup_id_z 0
		.amdhsa_system_sgpr_workgroup_info 0
		.amdhsa_system_vgpr_workitem_id 0
		.amdhsa_next_free_vgpr 24
		.amdhsa_next_free_sgpr 37
		.amdhsa_named_barrier_count 0
		.amdhsa_reserve_vcc 1
		.amdhsa_float_round_mode_32 0
		.amdhsa_float_round_mode_16_64 0
		.amdhsa_float_denorm_mode_32 3
		.amdhsa_float_denorm_mode_16_64 3
		.amdhsa_fp16_overflow 0
		.amdhsa_memory_ordered 1
		.amdhsa_forward_progress 1
		.amdhsa_inst_pref_size 62
		.amdhsa_round_robin_scheduling 0
		.amdhsa_exception_fp_ieee_invalid_op 0
		.amdhsa_exception_fp_denorm_src 0
		.amdhsa_exception_fp_ieee_div_zero 0
		.amdhsa_exception_fp_ieee_overflow 0
		.amdhsa_exception_fp_ieee_underflow 0
		.amdhsa_exception_fp_ieee_inexact 0
		.amdhsa_exception_int_div_zero 0
	.end_amdhsa_kernel
	.section	.text._ZN4vllm39rms_norm_dynamic_per_token_quant_kernelIN3c104HalfEaLb0EEEvPT0_PfPKT_S8_PKffiPS6_,"axG",@progbits,_ZN4vllm39rms_norm_dynamic_per_token_quant_kernelIN3c104HalfEaLb0EEEvPT0_PfPKT_S8_PKffiPS6_,comdat
.Lfunc_end11:
	.size	_ZN4vllm39rms_norm_dynamic_per_token_quant_kernelIN3c104HalfEaLb0EEEvPT0_PfPKT_S8_PKffiPS6_, .Lfunc_end11-_ZN4vllm39rms_norm_dynamic_per_token_quant_kernelIN3c104HalfEaLb0EEEvPT0_PfPKT_S8_PKffiPS6_
                                        ; -- End function
	.set _ZN4vllm39rms_norm_dynamic_per_token_quant_kernelIN3c104HalfEaLb0EEEvPT0_PfPKT_S8_PKffiPS6_.num_vgpr, 24
	.set _ZN4vllm39rms_norm_dynamic_per_token_quant_kernelIN3c104HalfEaLb0EEEvPT0_PfPKT_S8_PKffiPS6_.num_agpr, 0
	.set _ZN4vllm39rms_norm_dynamic_per_token_quant_kernelIN3c104HalfEaLb0EEEvPT0_PfPKT_S8_PKffiPS6_.numbered_sgpr, 37
	.set _ZN4vllm39rms_norm_dynamic_per_token_quant_kernelIN3c104HalfEaLb0EEEvPT0_PfPKT_S8_PKffiPS6_.num_named_barrier, 0
	.set _ZN4vllm39rms_norm_dynamic_per_token_quant_kernelIN3c104HalfEaLb0EEEvPT0_PfPKT_S8_PKffiPS6_.private_seg_size, 0
	.set _ZN4vllm39rms_norm_dynamic_per_token_quant_kernelIN3c104HalfEaLb0EEEvPT0_PfPKT_S8_PKffiPS6_.uses_vcc, 1
	.set _ZN4vllm39rms_norm_dynamic_per_token_quant_kernelIN3c104HalfEaLb0EEEvPT0_PfPKT_S8_PKffiPS6_.uses_flat_scratch, 0
	.set _ZN4vllm39rms_norm_dynamic_per_token_quant_kernelIN3c104HalfEaLb0EEEvPT0_PfPKT_S8_PKffiPS6_.has_dyn_sized_stack, 0
	.set _ZN4vllm39rms_norm_dynamic_per_token_quant_kernelIN3c104HalfEaLb0EEEvPT0_PfPKT_S8_PKffiPS6_.has_recursion, 0
	.set _ZN4vllm39rms_norm_dynamic_per_token_quant_kernelIN3c104HalfEaLb0EEEvPT0_PfPKT_S8_PKffiPS6_.has_indirect_call, 0
	.section	.AMDGPU.csdata,"",@progbits
; Kernel info:
; codeLenInByte = 7896
; TotalNumSgprs: 39
; NumVgprs: 24
; ScratchSize: 0
; MemoryBound: 0
; FloatMode: 240
; IeeeMode: 1
; LDSByteSize: 272 bytes/workgroup (compile time only)
; SGPRBlocks: 0
; VGPRBlocks: 1
; NumSGPRsForWavesPerEU: 39
; NumVGPRsForWavesPerEU: 24
; NamedBarCnt: 0
; Occupancy: 16
; WaveLimiterHint : 0
; COMPUTE_PGM_RSRC2:SCRATCH_EN: 0
; COMPUTE_PGM_RSRC2:USER_SGPR: 2
; COMPUTE_PGM_RSRC2:TRAP_HANDLER: 0
; COMPUTE_PGM_RSRC2:TGID_X_EN: 1
; COMPUTE_PGM_RSRC2:TGID_Y_EN: 0
; COMPUTE_PGM_RSRC2:TGID_Z_EN: 0
; COMPUTE_PGM_RSRC2:TIDIG_COMP_CNT: 0
	.section	.text._ZN4vllm39rms_norm_dynamic_per_token_quant_kernelIN3c108BFloat16ENS1_13Float8_e4m3fnELb1EEEvPT0_PfPKT_S9_PKffiPS7_,"axG",@progbits,_ZN4vllm39rms_norm_dynamic_per_token_quant_kernelIN3c108BFloat16ENS1_13Float8_e4m3fnELb1EEEvPT0_PfPKT_S9_PKffiPS7_,comdat
	.protected	_ZN4vllm39rms_norm_dynamic_per_token_quant_kernelIN3c108BFloat16ENS1_13Float8_e4m3fnELb1EEEvPT0_PfPKT_S9_PKffiPS7_ ; -- Begin function _ZN4vllm39rms_norm_dynamic_per_token_quant_kernelIN3c108BFloat16ENS1_13Float8_e4m3fnELb1EEEvPT0_PfPKT_S9_PKffiPS7_
	.globl	_ZN4vllm39rms_norm_dynamic_per_token_quant_kernelIN3c108BFloat16ENS1_13Float8_e4m3fnELb1EEEvPT0_PfPKT_S9_PKffiPS7_
	.p2align	8
	.type	_ZN4vllm39rms_norm_dynamic_per_token_quant_kernelIN3c108BFloat16ENS1_13Float8_e4m3fnELb1EEEvPT0_PfPKT_S9_PKffiPS7_,@function
_ZN4vllm39rms_norm_dynamic_per_token_quant_kernelIN3c108BFloat16ENS1_13Float8_e4m3fnELb1EEEvPT0_PfPKT_S9_PKffiPS7_: ; @_ZN4vllm39rms_norm_dynamic_per_token_quant_kernelIN3c108BFloat16ENS1_13Float8_e4m3fnELb1EEEvPT0_PfPKT_S9_PKffiPS7_
; %bb.0:
	s_clause 0x2
	s_load_b128 s[24:27], s[0:1], 0x20
	s_load_b256 s[16:23], s[0:1], 0x0
	s_load_b64 s[14:15], s[0:1], 0x30
	s_mov_b32 s31, 0
	s_getreg_b32 s33, hwreg(HW_REG_IB_STS2, 6, 4)
	s_add_nc_u64 s[34:35], s[0:1], 56
	s_wait_kmcnt 0x0
	s_and_b32 s2, s27, 3
	s_delay_alu instid0(SALU_CYCLE_1)
	s_cmp_lg_u32 s2, 0
	s_cbranch_scc0 .LBB12_33
; %bb.1:
	s_load_b32 s12, s[0:1], 0x38
	s_bfe_u32 s2, ttmp6, 0x4000c
	s_and_b32 s3, ttmp6, 15
	s_add_co_i32 s2, s2, 1
	v_mov_b32_e32 v1, 0
	s_mul_i32 s2, ttmp9, s2
	s_mov_b32 s4, s27
	s_add_co_i32 s3, s3, s2
	s_cmp_eq_u32 s33, 0
	v_cmp_gt_u32_e64 s2, s27, v0
	s_cselect_b32 s30, ttmp9, s3
	s_ashr_i32 s5, s27, 31
	s_delay_alu instid0(SALU_CYCLE_1)
	s_mul_u64 s[28:29], s[4:5], s[30:31]
	s_and_saveexec_b32 s3, s2
	s_cbranch_execz .LBB12_5
; %bb.2:
	s_wait_kmcnt 0x0
	s_cmp_lt_u32 s30, s12
	s_mov_b32 s5, 0
	s_cselect_b32 s4, 12, 18
	v_dual_mov_b32 v3, 0 :: v_dual_mov_b32 v1, 0
	s_add_nc_u64 s[6:7], s[34:35], s[4:5]
	v_mov_b32_e32 v2, v0
	s_load_u16 s4, s[6:7], 0x0
.LBB12_3:                               ; =>This Inner Loop Header: Depth=1
	s_delay_alu instid0(VALU_DEP_1) | instskip(NEXT) | instid1(VALU_DEP_1)
	v_add_nc_u64_e32 v[4:5], s[28:29], v[2:3]
	v_lshlrev_b64_e32 v[4:5], 1, v[4:5]
	s_delay_alu instid0(VALU_DEP_1)
	v_add_nc_u64_e32 v[6:7], s[20:21], v[4:5]
	v_add_nc_u64_e32 v[4:5], s[14:15], v[4:5]
	global_load_u16 v8, v[6:7], off
	global_load_u16 v9, v[4:5], off
	s_wait_loadcnt 0x0
	v_dual_lshlrev_b32 v4, 16, v8 :: v_dual_lshlrev_b32 v5, 16, v9
	s_wait_kmcnt 0x0
	s_delay_alu instid0(VALU_DEP_1) | instskip(NEXT) | instid1(VALU_DEP_1)
	v_dual_add_nc_u32 v2, s4, v2 :: v_dual_add_f32 v4, v5, v4
	v_cmp_le_u32_e32 vcc_lo, s27, v2
	s_delay_alu instid0(VALU_DEP_2) | instskip(SKIP_1) | instid1(SALU_CYCLE_1)
	v_fmac_f32_e32 v1, v4, v4
	s_or_b32 s5, vcc_lo, s5
	s_and_not1_b32 exec_lo, exec_lo, s5
	s_cbranch_execnz .LBB12_3
; %bb.4:
	s_or_b32 exec_lo, exec_lo, s5
.LBB12_5:
	s_delay_alu instid0(SALU_CYCLE_1) | instskip(SKIP_3) | instid1(VALU_DEP_2)
	s_or_b32 exec_lo, exec_lo, s3
	v_mbcnt_lo_u32_b32 v4, -1, 0
	s_load_b32 s3, s[34:35], 0xc
	v_and_b32_e32 v3, 0x3c0, v0
	v_cmp_ne_u32_e32 vcc_lo, 63, v4
	v_cmp_eq_u32_e64 s8, 0, v4
	v_dual_add_nc_u32 v5, 1, v4 :: v_dual_lshlrev_b32 v8, 2, v4
	v_add_co_ci_u32_e64 v2, null, 0, v4, vcc_lo
	v_cmp_gt_u32_e32 vcc_lo, 62, v4
	s_delay_alu instid0(VALU_DEP_2)
	v_lshlrev_b32_e32 v7, 2, v2
	v_cndmask_b32_e64 v6, 0, 2, vcc_lo
	v_cmp_gt_u32_e32 vcc_lo, 60, v4
	ds_bpermute_b32 v2, v7, v1
	s_wait_kmcnt 0x0
	s_and_b32 s36, s3, 0xffff
	v_add_lshl_u32 v9, v6, v4, 2
	v_sub_nc_u32_e64 v3, s36, v3 clamp
	v_add_nc_u32_e32 v6, 2, v4
	s_delay_alu instid0(VALU_DEP_2) | instskip(NEXT) | instid1(VALU_DEP_2)
	v_cmp_lt_u32_e64 s3, v5, v3
	v_cmp_lt_u32_e64 s4, v6, v3
	v_add_nc_u32_e32 v6, 4, v4
	v_cndmask_b32_e64 v5, 0, 4, vcc_lo
	v_cmp_gt_u32_e32 vcc_lo, 56, v4
	s_delay_alu instid0(VALU_DEP_3) | instskip(NEXT) | instid1(VALU_DEP_3)
	v_cmp_lt_u32_e64 s5, v6, v3
	v_add_lshl_u32 v10, v5, v4, 2
	v_cndmask_b32_e64 v5, 0, 8, vcc_lo
	v_cmp_gt_u32_e32 vcc_lo, 48, v4
	s_wait_dscnt 0x0
	v_dual_add_nc_u32 v6, 8, v4 :: v_dual_add_f32 v2, v1, v2
	s_delay_alu instid0(VALU_DEP_3) | instskip(SKIP_1) | instid1(VALU_DEP_3)
	v_add_lshl_u32 v11, v5, v4, 2
	v_cndmask_b32_e64 v5, 0, 16, vcc_lo
	v_cmp_lt_u32_e64 s6, v6, v3
	s_delay_alu instid0(VALU_DEP_4) | instskip(NEXT) | instid1(VALU_DEP_3)
	v_cndmask_b32_e64 v1, v1, v2, s3
	v_add_lshl_u32 v12, v5, v4, 2
	v_add_nc_u32_e32 v5, 16, v4
	ds_bpermute_b32 v2, v9, v1
	v_cmp_lt_u32_e64 s7, v5, v3
	v_or_b32_e32 v5, 32, v4
	s_delay_alu instid0(VALU_DEP_1) | instskip(SKIP_2) | instid1(VALU_DEP_1)
	v_cmp_lt_u32_e64 s10, v5, v3
	s_wait_dscnt 0x0
	v_add_f32_e32 v2, v1, v2
	v_cndmask_b32_e64 v1, v1, v2, s4
	ds_bpermute_b32 v2, v10, v1
	s_wait_dscnt 0x0
	v_add_f32_e32 v2, v1, v2
	s_delay_alu instid0(VALU_DEP_1) | instskip(SKIP_3) | instid1(VALU_DEP_1)
	v_cndmask_b32_e64 v1, v1, v2, s5
	ds_bpermute_b32 v2, v11, v1
	s_wait_dscnt 0x0
	v_add_f32_e32 v2, v1, v2
	v_cndmask_b32_e64 v1, v1, v2, s6
	ds_bpermute_b32 v2, v12, v1
	s_wait_dscnt 0x0
	v_add_f32_e32 v2, v1, v2
	s_delay_alu instid0(VALU_DEP_1) | instskip(SKIP_3) | instid1(VALU_DEP_1)
	v_cndmask_b32_e64 v1, v1, v2, s7
	ds_bpermute_b32 v2, v8, v1 offset:128
	s_wait_dscnt 0x0
	v_add_f32_e32 v2, v1, v2
	v_cndmask_b32_e64 v1, v1, v2, s10
	s_and_saveexec_b32 s9, s8
; %bb.6:
	v_lshrrev_b32_e32 v2, 4, v0
	s_delay_alu instid0(VALU_DEP_1)
	v_and_b32_e32 v2, 60, v2
	ds_store_b32 v2, v1 offset:128
; %bb.7:
	s_or_b32 exec_lo, exec_lo, s9
	v_cmp_gt_u32_e64 s9, 16, v0
	v_and_b32_e32 v5, 15, v4
	v_or_b32_e32 v6, 32, v8
	s_wait_dscnt 0x0
	s_barrier_signal -1
	s_barrier_wait -1
	s_and_saveexec_b32 s13, s9
	s_cbranch_execz .LBB12_9
; %bb.8:
	ds_load_b32 v1, v8 offset:128
	v_cmp_ne_u32_e32 vcc_lo, 15, v5
	s_add_co_i32 s11, s36, 63
	v_add_nc_u32_e32 v13, 1, v5
	s_lshr_b32 s37, s11, 6
	v_cmp_gt_u32_e64 s11, 12, v5
	v_add_co_ci_u32_e64 v2, null, 0, v4, vcc_lo
	v_cmp_gt_u32_e32 vcc_lo, 14, v5
	s_delay_alu instid0(VALU_DEP_3) | instskip(NEXT) | instid1(VALU_DEP_3)
	v_cndmask_b32_e64 v14, 0, 4, s11
	v_lshlrev_b32_e32 v2, 2, v2
	v_cndmask_b32_e64 v3, 0, 2, vcc_lo
	v_cmp_gt_u32_e32 vcc_lo, s37, v13
	v_add_nc_u32_e32 v13, 2, v5
	s_delay_alu instid0(VALU_DEP_3)
	v_add_lshl_u32 v3, v3, v4, 2
	s_wait_dscnt 0x0
	ds_bpermute_b32 v2, v2, v1
	v_cmp_gt_u32_e64 s11, s37, v13
	s_wait_dscnt 0x0
	v_dual_add_f32 v2, v1, v2 :: v_dual_add_nc_u32 v13, 4, v5
	s_delay_alu instid0(VALU_DEP_1) | instskip(SKIP_3) | instid1(VALU_DEP_1)
	v_cndmask_b32_e32 v2, v1, v2, vcc_lo
	ds_bpermute_b32 v3, v3, v2
	s_wait_dscnt 0x0
	v_add_f32_e32 v3, v2, v3
	v_cndmask_b32_e64 v2, v2, v3, s11
	v_add_lshl_u32 v3, v14, v4, 2
	v_cmp_gt_u32_e64 s11, s37, v13
	v_add_nc_u32_e32 v13, 8, v5
	ds_bpermute_b32 v3, v3, v2
	s_wait_dscnt 0x0
	v_add_f32_e32 v3, v2, v3
	s_delay_alu instid0(VALU_DEP_1) | instskip(SKIP_4) | instid1(VALU_DEP_1)
	v_cndmask_b32_e64 v2, v2, v3, s11
	v_cmp_gt_u32_e64 s11, s37, v13
	ds_bpermute_b32 v3, v6, v2
	s_wait_dscnt 0x0
	v_add_f32_e32 v3, v2, v3
	v_cndmask_b32_e64 v2, v2, v3, s11
	s_delay_alu instid0(VALU_DEP_1)
	v_cndmask_b32_e32 v1, v1, v2, vcc_lo
.LBB12_9:
	s_or_b32 exec_lo, exec_lo, s13
	v_cmp_eq_u32_e64 s11, 0, v0
	s_and_saveexec_b32 s13, s11
	s_cbranch_execz .LBB12_11
; %bb.10:
	s_cvt_f32_i32 s37, s27
	s_delay_alu instid0(SALU_CYCLE_3) | instskip(SKIP_1) | instid1(VALU_DEP_2)
	v_div_scale_f32 v2, null, s37, s37, v1
	v_div_scale_f32 v14, vcc_lo, v1, s37, v1
	v_rcp_f32_e32 v3, v2
	v_nop
	s_delay_alu instid0(TRANS32_DEP_1) | instskip(NEXT) | instid1(VALU_DEP_1)
	v_fma_f32 v13, -v2, v3, 1.0
	v_fmac_f32_e32 v3, v13, v3
	s_delay_alu instid0(VALU_DEP_1) | instskip(NEXT) | instid1(VALU_DEP_1)
	v_mul_f32_e32 v13, v14, v3
	v_fma_f32 v15, -v2, v13, v14
	s_delay_alu instid0(VALU_DEP_1) | instskip(NEXT) | instid1(VALU_DEP_1)
	v_fmac_f32_e32 v13, v15, v3
	v_fma_f32 v2, -v2, v13, v14
	s_delay_alu instid0(VALU_DEP_1) | instskip(NEXT) | instid1(VALU_DEP_1)
	v_div_fmas_f32 v2, v2, v3, v13
	v_div_fixup_f32 v1, v2, s37, v1
	s_delay_alu instid0(VALU_DEP_1) | instskip(NEXT) | instid1(VALU_DEP_1)
	v_add_f32_e32 v1, s26, v1
	v_mul_f32_e32 v2, 0x4b800000, v1
	v_cmp_gt_f32_e32 vcc_lo, 0x800000, v1
	s_delay_alu instid0(VALU_DEP_2) | instskip(NEXT) | instid1(VALU_DEP_1)
	v_cndmask_b32_e32 v1, v1, v2, vcc_lo
	v_rsq_f32_e32 v1, v1
	v_nop
	s_delay_alu instid0(TRANS32_DEP_1) | instskip(NEXT) | instid1(VALU_DEP_1)
	v_mul_f32_e32 v2, 0x45800000, v1
	v_dual_cndmask_b32 v1, v1, v2 :: v_dual_mov_b32 v2, 0
	ds_store_b32 v2, v1 offset:264
.LBB12_11:
	s_or_b32 exec_lo, exec_lo, s13
	v_mov_b32_e32 v13, 0
	s_wait_dscnt 0x0
	s_barrier_signal -1
	s_barrier_wait -1
	ds_load_b32 v1, v13 offset:264
	s_and_saveexec_b32 s37, s2
	s_cbranch_execz .LBB12_15
; %bb.12:
	s_cmp_lt_u32 s30, s12
	s_mov_b32 s13, 0
	s_cselect_b32 s12, 12, 18
	v_dual_mov_b32 v3, 0 :: v_dual_mov_b32 v13, 0
	s_add_nc_u64 s[38:39], s[34:35], s[12:13]
	v_mov_b32_e32 v2, v0
	s_load_u16 s38, s[38:39], 0x0
.LBB12_13:                              ; =>This Inner Loop Header: Depth=1
	s_delay_alu instid0(VALU_DEP_1) | instskip(NEXT) | instid1(VALU_DEP_1)
	v_add_nc_u64_e32 v[14:15], s[28:29], v[2:3]
	v_lshlrev_b64_e32 v[14:15], 1, v[14:15]
	s_delay_alu instid0(VALU_DEP_1)
	v_add_nc_u64_e32 v[16:17], s[20:21], v[14:15]
	v_add_nc_u64_e32 v[14:15], s[14:15], v[14:15]
	global_load_u16 v18, v[16:17], off
	global_load_u16 v19, v[14:15], off
	global_load_u16 v20, v2, s[22:23] scale_offset
	s_wait_loadcnt 0x1
	s_wait_xcnt 0x1
	v_dual_lshlrev_b32 v14, 16, v18 :: v_dual_lshlrev_b32 v15, 16, v19
	s_wait_loadcnt 0x0
	s_delay_alu instid0(VALU_DEP_1) | instskip(SKIP_1) | instid1(VALU_DEP_1)
	v_dual_lshlrev_b32 v16, 16, v20 :: v_dual_add_f32 v14, v15, v14
	s_wait_dscnt 0x0
	v_mul_f32_e32 v14, v1, v14
	s_delay_alu instid0(VALU_DEP_1) | instskip(SKIP_1) | instid1(VALU_DEP_2)
	v_bfe_u32 v15, v14, 16, 1
	v_cmp_o_f32_e32 vcc_lo, v14, v14
	v_add3_u32 v15, v14, v15, 0x7fff
	s_delay_alu instid0(VALU_DEP_1) | instskip(NEXT) | instid1(VALU_DEP_1)
	v_and_b32_e32 v15, 0xffff0000, v15
	v_cndmask_b32_e32 v14, 0x7fc00000, v15, vcc_lo
	s_delay_alu instid0(VALU_DEP_1) | instskip(NEXT) | instid1(VALU_DEP_1)
	v_dual_mul_f32 v14, v14, v16 :: v_dual_max_num_f32 v16, v13, v13
	v_bfe_u32 v15, v14, 16, 1
	v_cmp_u_f32_e64 s12, v14, v14
	s_delay_alu instid0(VALU_DEP_2) | instskip(NEXT) | instid1(VALU_DEP_1)
	v_add3_u32 v15, v14, v15, 0x7fff
	v_and_b32_e32 v15, 0xffff0000, v15
	s_delay_alu instid0(VALU_DEP_1) | instskip(SKIP_1) | instid1(VALU_DEP_1)
	v_max_num_f32_e64 v15, |v15|, |v15|
	s_wait_kmcnt 0x0
	v_dual_max_num_f32 v15, v16, v15 :: v_dual_add_nc_u32 v2, s38, v2
	s_delay_alu instid0(VALU_DEP_1) | instskip(NEXT) | instid1(VALU_DEP_2)
	v_cndmask_b32_e64 v13, v15, v13, s12
	v_cmp_le_u32_e32 vcc_lo, s27, v2
	s_or_b32 s13, vcc_lo, s13
	s_delay_alu instid0(SALU_CYCLE_1)
	s_and_not1_b32 exec_lo, exec_lo, s13
	s_cbranch_execnz .LBB12_13
; %bb.14:
	s_or_b32 exec_lo, exec_lo, s13
.LBB12_15:
	s_delay_alu instid0(SALU_CYCLE_1)
	s_or_b32 exec_lo, exec_lo, s37
	ds_bpermute_b32 v3, v7, v13
	v_or_b32_e32 v2, 0x80, v8
	s_wait_dscnt 0x0
	v_cmp_lt_f32_e32 vcc_lo, v13, v3
	v_cndmask_b32_e32 v3, v13, v3, vcc_lo
	s_delay_alu instid0(VALU_DEP_1) | instskip(SKIP_1) | instid1(SALU_CYCLE_1)
	v_cndmask_b32_e64 v3, v13, v3, s3
	s_or_b32 s3, s3, s4
	s_or_b32 s3, s5, s3
	s_delay_alu instid0(SALU_CYCLE_1)
	s_or_b32 s3, s6, s3
	ds_bpermute_b32 v7, v9, v3
	s_or_b32 s3, s7, s3
	s_wait_dscnt 0x0
	v_cmp_lt_f32_e32 vcc_lo, v3, v7
	v_cndmask_b32_e32 v7, v3, v7, vcc_lo
	s_delay_alu instid0(VALU_DEP_1) | instskip(SKIP_4) | instid1(VALU_DEP_1)
	v_cndmask_b32_e64 v3, v3, v7, s4
	ds_bpermute_b32 v7, v10, v3
	s_wait_dscnt 0x0
	v_cmp_lt_f32_e32 vcc_lo, v3, v7
	v_cndmask_b32_e32 v7, v3, v7, vcc_lo
	v_cndmask_b32_e64 v3, v3, v7, s5
	ds_bpermute_b32 v7, v11, v3
	s_wait_dscnt 0x0
	v_cmp_lt_f32_e32 vcc_lo, v3, v7
	v_cndmask_b32_e32 v7, v3, v7, vcc_lo
	s_delay_alu instid0(VALU_DEP_1) | instskip(SKIP_4) | instid1(VALU_DEP_1)
	v_cndmask_b32_e64 v3, v3, v7, s6
	ds_bpermute_b32 v7, v12, v3
	s_wait_dscnt 0x0
	v_cmp_lt_f32_e32 vcc_lo, v3, v7
	v_cndmask_b32_e32 v7, v3, v7, vcc_lo
	v_cndmask_b32_e64 v3, v3, v7, s7
	ds_bpermute_b32 v2, v2, v3
	s_wait_dscnt 0x0
	v_cmp_lt_f32_e32 vcc_lo, v3, v2
	s_and_b32 vcc_lo, s10, vcc_lo
	v_cndmask_b32_e32 v2, v3, v2, vcc_lo
	s_or_b32 vcc_lo, s10, s3
	s_delay_alu instid0(VALU_DEP_1)
	v_cndmask_b32_e32 v2, v13, v2, vcc_lo
	s_and_saveexec_b32 s3, s8
; %bb.16:
	v_lshrrev_b32_e32 v3, 4, v0
	s_delay_alu instid0(VALU_DEP_1)
	v_and_b32_e32 v3, 60, v3
	ds_store_b32 v3, v2 offset:192
; %bb.17:
	s_or_b32 exec_lo, exec_lo, s3
	s_wait_dscnt 0x0
	s_barrier_signal -1
	s_barrier_wait -1
	s_and_saveexec_b32 s5, s9
	s_cbranch_execz .LBB12_19
; %bb.18:
	ds_load_b32 v2, v8 offset:192
	v_cmp_ne_u32_e32 vcc_lo, 15, v5
	s_add_co_i32 s3, s36, 63
	v_add_nc_u32_e32 v7, 1, v5
	s_lshr_b32 s4, s3, 6
	v_cmp_gt_u32_e64 s3, 12, v5
	v_add_co_ci_u32_e64 v3, null, 0, v4, vcc_lo
	v_cmp_gt_u32_e32 vcc_lo, 14, v5
	s_delay_alu instid0(VALU_DEP_3) | instskip(NEXT) | instid1(VALU_DEP_3)
	v_cndmask_b32_e64 v9, 0, 4, s3
	v_lshlrev_b32_e32 v3, 2, v3
	v_cndmask_b32_e64 v8, 0, 2, vcc_lo
	s_delay_alu instid0(VALU_DEP_1) | instskip(NEXT) | instid1(VALU_DEP_4)
	v_add_lshl_u32 v8, v8, v4, 2
	v_add_lshl_u32 v4, v9, v4, 2
	s_wait_dscnt 0x0
	ds_bpermute_b32 v3, v3, v2
	s_wait_dscnt 0x0
	v_cmp_lt_f32_e32 vcc_lo, v2, v3
	v_cndmask_b32_e32 v3, v2, v3, vcc_lo
	v_cmp_gt_u32_e32 vcc_lo, s4, v7
	s_delay_alu instid0(VALU_DEP_2) | instskip(SKIP_4) | instid1(VALU_DEP_1)
	v_cndmask_b32_e32 v3, v2, v3, vcc_lo
	ds_bpermute_b32 v7, v8, v3
	v_add_nc_u32_e32 v8, 2, v5
	s_wait_dscnt 0x0
	v_cmp_lt_f32_e64 s3, v3, v7
	v_cndmask_b32_e64 v7, v3, v7, s3
	s_delay_alu instid0(VALU_DEP_3) | instskip(NEXT) | instid1(VALU_DEP_1)
	v_cmp_gt_u32_e64 s3, s4, v8
	v_dual_cndmask_b32 v3, v3, v7, s3 :: v_dual_add_nc_u32 v7, 4, v5
	v_add_nc_u32_e32 v5, 8, v5
	ds_bpermute_b32 v4, v4, v3
	s_wait_dscnt 0x0
	v_cmp_lt_f32_e64 s3, v3, v4
	s_delay_alu instid0(VALU_DEP_1) | instskip(SKIP_1) | instid1(VALU_DEP_1)
	v_cndmask_b32_e64 v4, v3, v4, s3
	v_cmp_gt_u32_e64 s3, s4, v7
	v_cndmask_b32_e64 v3, v3, v4, s3
	v_cmp_gt_u32_e64 s3, s4, v5
	ds_bpermute_b32 v4, v6, v3
	s_wait_dscnt 0x0
	v_cmp_lt_f32_e64 s4, v3, v4
	s_and_b32 s3, s3, s4
	s_delay_alu instid0(SALU_CYCLE_1) | instskip(NEXT) | instid1(VALU_DEP_1)
	v_cndmask_b32_e64 v3, v3, v4, s3
	v_cndmask_b32_e32 v2, v2, v3, vcc_lo
.LBB12_19:
	s_or_b32 exec_lo, exec_lo, s5
	s_and_saveexec_b32 s3, s11
	s_cbranch_execz .LBB12_23
; %bb.20:
	s_cmp_eq_u64 s[24:25], 0
	s_cbranch_scc1 .LBB12_22
; %bb.21:
	s_load_b32 s4, s[24:25], 0x0
	v_max_num_f32_e32 v2, v2, v2
	s_wait_kmcnt 0x0
	v_max_num_f32_e64 v3, s4, s4
	s_delay_alu instid0(VALU_DEP_1)
	v_min_num_f32_e32 v2, v2, v3
.LBB12_22:
	s_delay_alu instid0(VALU_DEP_1)
	v_div_scale_f32 v3, null, 0x43e00000, 0x43e00000, v2
	v_div_scale_f32 v6, vcc_lo, v2, 0x43e00000, v2
	s_lshl_b64 s[4:5], s[30:31], 2
	v_rcp_f32_e32 v4, v3
	s_add_nc_u64 s[4:5], s[18:19], s[4:5]
	v_nop
	s_delay_alu instid0(TRANS32_DEP_1) | instskip(NEXT) | instid1(VALU_DEP_1)
	v_fma_f32 v5, -v3, v4, 1.0
	v_fmac_f32_e32 v4, v5, v4
	s_delay_alu instid0(VALU_DEP_1) | instskip(NEXT) | instid1(VALU_DEP_1)
	v_mul_f32_e32 v5, v6, v4
	v_fma_f32 v7, -v3, v5, v6
	s_delay_alu instid0(VALU_DEP_1) | instskip(NEXT) | instid1(VALU_DEP_1)
	v_fmac_f32_e32 v5, v7, v4
	v_fma_f32 v3, -v3, v5, v6
	s_delay_alu instid0(VALU_DEP_1) | instskip(NEXT) | instid1(VALU_DEP_1)
	v_div_fmas_f32 v3, v3, v4, v5
	v_div_fixup_f32 v2, v3, 0x43e00000, v2
	s_delay_alu instid0(VALU_DEP_1)
	v_dual_mov_b32 v3, 0 :: v_dual_max_num_f32 v2, 0x36924925, v2
	ds_store_b32 v3, v2 offset:268
	global_store_b32 v3, v2, s[4:5]
.LBB12_23:
	s_wait_xcnt 0x0
	s_or_b32 exec_lo, exec_lo, s3
	s_wait_storecnt_dscnt 0x0
	s_barrier_signal -1
	s_barrier_wait -1
	s_and_saveexec_b32 s3, s2
	s_cbranch_execz .LBB12_32
; %bb.24:
	v_dual_mov_b32 v3, 0 :: v_dual_mov_b32 v2, v0
	s_mov_b32 s2, 0
	s_mov_b32 s4, 0x43e00000
	ds_load_b32 v6, v3 offset:268
	s_branch .LBB12_27
.LBB12_25:                              ;   in Loop: Header=BB12_27 Depth=1
	s_or_b32 exec_lo, exec_lo, s6
.LBB12_26:                              ;   in Loop: Header=BB12_27 Depth=1
	s_delay_alu instid0(SALU_CYCLE_1) | instskip(SKIP_2) | instid1(VALU_DEP_2)
	s_or_b32 exec_lo, exec_lo, s5
	v_dual_add_nc_u32 v2, s36, v2 :: v_dual_lshrrev_b32 v7, 24, v7
	v_add_nc_u64_e32 v[4:5], s[16:17], v[4:5]
	v_cmp_le_u32_e32 vcc_lo, s27, v2
	s_delay_alu instid0(VALU_DEP_3)
	v_and_or_b32 v7, 0x80, v7, v8
	s_or_b32 s2, vcc_lo, s2
	global_store_b8 v[4:5], v7, off
	s_wait_xcnt 0x0
	s_and_not1_b32 exec_lo, exec_lo, s2
	s_cbranch_execz .LBB12_32
.LBB12_27:                              ; =>This Inner Loop Header: Depth=1
	v_add_nc_u64_e32 v[4:5], s[28:29], v[2:3]
	s_mov_b32 s5, exec_lo
	s_delay_alu instid0(VALU_DEP_1) | instskip(NEXT) | instid1(VALU_DEP_1)
	v_lshlrev_b64_e32 v[8:9], 1, v[4:5]
	v_add_nc_u64_e32 v[10:11], s[20:21], v[8:9]
	v_add_nc_u64_e32 v[12:13], s[14:15], v[8:9]
	global_load_u16 v7, v[10:11], off
	global_load_u16 v8, v[12:13], off
	global_load_u16 v9, v2, s[22:23] scale_offset
	s_wait_loadcnt 0x1
	v_dual_lshlrev_b32 v7, 16, v7 :: v_dual_lshlrev_b32 v8, 16, v8
	s_wait_loadcnt 0x0
	s_delay_alu instid0(VALU_DEP_1) | instskip(NEXT) | instid1(VALU_DEP_1)
	v_dual_add_f32 v8, v8, v7 :: v_dual_lshlrev_b32 v9, 16, v9
	v_mul_f32_e32 v7, v1, v8
	s_wait_xcnt 0x2
	s_delay_alu instid0(VALU_DEP_1) | instskip(SKIP_1) | instid1(VALU_DEP_2)
	v_bfe_u32 v10, v7, 16, 1
	v_cmp_o_f32_e32 vcc_lo, v7, v7
	v_add3_u32 v10, v7, v10, 0x7fff
	s_delay_alu instid0(VALU_DEP_1) | instskip(NEXT) | instid1(VALU_DEP_1)
	v_and_b32_e32 v10, 0xffff0000, v10
	v_cndmask_b32_e32 v7, 0x7fc00000, v10, vcc_lo
	s_delay_alu instid0(VALU_DEP_1) | instskip(NEXT) | instid1(VALU_DEP_1)
	v_mul_f32_e32 v7, v7, v9
	v_bfe_u32 v9, v7, 16, 1
	v_cmp_o_f32_e32 vcc_lo, v7, v7
	s_delay_alu instid0(VALU_DEP_2) | instskip(NEXT) | instid1(VALU_DEP_1)
	v_add3_u32 v9, v7, v9, 0x7fff
	v_and_b32_e32 v9, 0xffff0000, v9
	s_delay_alu instid0(VALU_DEP_1) | instskip(SKIP_1) | instid1(VALU_DEP_1)
	v_cndmask_b32_e32 v7, 0x7fc00000, v9, vcc_lo
	s_wait_dscnt 0x0
	v_div_scale_f32 v9, null, v6, v6, v7
	v_div_scale_f32 v14, vcc_lo, v7, v6, v7
	s_delay_alu instid0(VALU_DEP_2) | instskip(SKIP_1) | instid1(TRANS32_DEP_1)
	v_rcp_f32_e32 v10, v9
	v_nop
	v_fma_f32 v11, -v9, v10, 1.0
	s_delay_alu instid0(VALU_DEP_1) | instskip(NEXT) | instid1(VALU_DEP_1)
	v_fmac_f32_e32 v10, v11, v10
	v_mul_f32_e32 v11, v14, v10
	s_delay_alu instid0(VALU_DEP_1) | instskip(NEXT) | instid1(VALU_DEP_1)
	v_fma_f32 v15, -v9, v11, v14
	v_fmac_f32_e32 v11, v15, v10
	s_delay_alu instid0(VALU_DEP_1) | instskip(NEXT) | instid1(VALU_DEP_1)
	v_fma_f32 v9, -v9, v11, v14
	v_div_fmas_f32 v9, v9, v10, v11
	v_bfe_u32 v10, v8, 16, 1
	v_cmp_o_f32_e32 vcc_lo, v8, v8
	s_delay_alu instid0(VALU_DEP_3) | instskip(NEXT) | instid1(VALU_DEP_3)
	v_div_fixup_f32 v7, v9, v6, v7
	v_add3_u32 v9, v8, v10, 0x7fff
	v_mov_b32_e32 v8, 0x7f
	s_delay_alu instid0(VALU_DEP_3) | instskip(NEXT) | instid1(VALU_DEP_3)
	v_minmax_num_f32 v7, v7, s4, 0xc3e00000
	v_lshrrev_b32_e32 v10, 16, v9
	s_delay_alu instid0(VALU_DEP_2) | instskip(NEXT) | instid1(VALU_DEP_2)
	v_and_b32_e32 v9, 0x7fffffff, v7
	v_cndmask_b32_e32 v10, 0x7fc0, v10, vcc_lo
	global_store_b16 v[12:13], v10, off
	s_wait_xcnt 0x0
	v_cmpx_gt_u32_e32 0x43f00000, v9
	s_cbranch_execz .LBB12_26
; %bb.28:                               ;   in Loop: Header=BB12_27 Depth=1
	s_mov_b32 s6, exec_lo
                                        ; implicit-def: $vgpr8
	v_cmpx_lt_u32_e32 0x3c7fffff, v9
	s_xor_b32 s6, exec_lo, s6
; %bb.29:                               ;   in Loop: Header=BB12_27 Depth=1
	v_bfe_u32 v8, v7, 20, 1
	s_delay_alu instid0(VALU_DEP_1) | instskip(NEXT) | instid1(VALU_DEP_1)
	v_add3_u32 v8, v7, v8, 0x407ffff
	v_lshrrev_b32_e32 v8, 20, v8
; %bb.30:                               ;   in Loop: Header=BB12_27 Depth=1
	s_and_not1_saveexec_b32 s6, s6
	s_cbranch_execz .LBB12_25
; %bb.31:                               ;   in Loop: Header=BB12_27 Depth=1
	v_add_f32_e64 v8, 0x46800000, |v7|
	s_branch .LBB12_25
.LBB12_32:
	s_or_b32 exec_lo, exec_lo, s3
	s_branch .LBB12_173
.LBB12_33:
	s_cbranch_execz .LBB12_173
; %bb.34:
	s_load_b32 s1, s[0:1], 0x38
	s_bfe_u32 s2, ttmp6, 0x4000c
	s_wait_xcnt 0x0
	s_and_b32 s0, ttmp6, 15
	s_add_co_i32 s2, s2, 1
	s_mov_b32 s31, 0
	s_mul_i32 s2, ttmp9, s2
	v_mov_b32_e32 v2, 0
	s_add_co_i32 s0, s0, s2
	s_cmp_eq_u32 s33, 0
	s_mov_b32 s2, s27
	s_cselect_b32 s30, ttmp9, s0
	s_ashr_i32 s3, s27, 31
	s_ashr_i32 s11, s27, 2
	s_mul_u64 s[28:29], s[2:3], s[30:31]
	v_cmp_gt_u32_e64 s0, s11, v0
	s_lshl_b64 s[2:3], s[28:29], 1
	s_delay_alu instid0(SALU_CYCLE_1)
	s_add_nc_u64 s[12:13], s[20:21], s[2:3]
	s_add_nc_u64 s[14:15], s[14:15], s[2:3]
	s_and_saveexec_b32 s2, s0
	s_cbranch_execz .LBB12_44
; %bb.35:
	s_wait_kmcnt 0x0
	s_cmp_lt_u32 s30, s1
	s_mov_b32 s5, s31
	s_cselect_b32 s4, 12, 18
	v_dual_mov_b32 v2, 0 :: v_dual_mov_b32 v1, v0
	s_add_nc_u64 s[4:5], s[34:35], s[4:5]
	s_mov_b32 s6, s31
	s_load_u16 s3, s[4:5], 0x0
                                        ; implicit-def: $sgpr8
	s_wait_kmcnt 0x0
	s_lshl_b32 s4, s3, 1
	s_mul_i32 s5, s3, 3
	s_add_co_i32 s7, s3, s3
	s_branch .LBB12_39
.LBB12_36:                              ;   in Loop: Header=BB12_39 Depth=1
	s_or_b32 exec_lo, exec_lo, s20
	s_delay_alu instid0(SALU_CYCLE_1)
	s_or_not1_b32 s20, s21, exec_lo
.LBB12_37:                              ;   in Loop: Header=BB12_39 Depth=1
	s_or_b32 exec_lo, exec_lo, s10
	s_delay_alu instid0(SALU_CYCLE_1) | instskip(SKIP_1) | instid1(SALU_CYCLE_1)
	s_and_not1_b32 s8, s8, exec_lo
	s_and_b32 s10, s20, exec_lo
	s_or_b32 s8, s8, s10
.LBB12_38:                              ;   in Loop: Header=BB12_39 Depth=1
	s_or_b32 exec_lo, exec_lo, s9
	s_delay_alu instid0(SALU_CYCLE_1) | instskip(NEXT) | instid1(SALU_CYCLE_1)
	s_and_b32 s9, exec_lo, s8
	s_or_b32 s6, s9, s6
	s_delay_alu instid0(SALU_CYCLE_1)
	s_and_not1_b32 exec_lo, exec_lo, s6
	s_cbranch_execz .LBB12_43
.LBB12_39:                              ; =>This Inner Loop Header: Depth=1
	s_clause 0x1
	global_load_b64 v[4:5], v1, s[12:13] scale_offset
	global_load_b64 v[6:7], v1, s[14:15] scale_offset
	s_or_b32 s8, s8, exec_lo
	s_mov_b32 s9, exec_lo
	s_wait_loadcnt 0x0
	v_dual_lshlrev_b32 v3, 16, v4 :: v_dual_lshlrev_b32 v8, 16, v6
	v_and_b32_e32 v9, 0xffff0000, v4
	v_alignbit_b32 v4, v5, v4, 16
	v_and_b32_e32 v10, 0xffff0000, v6
	v_alignbit_b32 v6, v7, v6, 16
	v_add_f32_e32 v3, v3, v8
	s_delay_alu instid0(VALU_DEP_4) | instskip(NEXT) | instid1(VALU_DEP_4)
	v_and_b32_e32 v4, 0xffff0000, v4
	v_add_f32_e32 v8, v9, v10
	s_delay_alu instid0(VALU_DEP_4) | instskip(NEXT) | instid1(VALU_DEP_4)
	v_and_b32_e32 v6, 0xffff0000, v6
	v_fmac_f32_e32 v2, v3, v3
	v_and_b32_e32 v3, 0xffff0000, v5
	v_and_b32_e32 v5, 0xffff0000, v7
	s_delay_alu instid0(VALU_DEP_4) | instskip(NEXT) | instid1(VALU_DEP_2)
	v_add_f32_e32 v4, v4, v6
	v_dual_fmac_f32 v2, v8, v8 :: v_dual_add_f32 v5, v3, v5
	s_delay_alu instid0(VALU_DEP_1) | instskip(NEXT) | instid1(VALU_DEP_1)
	v_dual_fmac_f32 v2, v4, v4 :: v_dual_add_nc_u32 v3, s3, v1
	v_fmac_f32_e32 v2, v5, v5
	s_wait_xcnt 0x0
	s_delay_alu instid0(VALU_DEP_2)
	v_cmpx_gt_u32_e64 s11, v3
	s_cbranch_execz .LBB12_38
; %bb.40:                               ;   in Loop: Header=BB12_39 Depth=1
	s_clause 0x1
	global_load_b64 v[4:5], v3, s[12:13] scale_offset
	global_load_b64 v[6:7], v3, s[14:15] scale_offset
	s_mov_b32 s20, -1
	s_mov_b32 s10, exec_lo
	s_wait_loadcnt 0x0
	v_dual_lshlrev_b32 v8, 16, v4 :: v_dual_lshlrev_b32 v9, 16, v6
	v_and_b32_e32 v10, 0xffff0000, v4
	v_alignbit_b32 v4, v5, v4, 16
	v_and_b32_e32 v11, 0xffff0000, v6
	v_alignbit_b32 v6, v7, v6, 16
	v_add_f32_e32 v8, v8, v9
	v_and_b32_e32 v5, 0xffff0000, v5
	v_and_b32_e32 v4, 0xffff0000, v4
	v_add_f32_e32 v9, v10, v11
	v_and_b32_e32 v6, 0xffff0000, v6
	v_and_b32_e32 v7, 0xffff0000, v7
	s_delay_alu instid0(VALU_DEP_1) | instskip(NEXT) | instid1(VALU_DEP_1)
	v_dual_fmac_f32 v2, v8, v8 :: v_dual_add_f32 v5, v5, v7
	v_dual_add_f32 v4, v4, v6 :: v_dual_fmac_f32 v2, v9, v9
	s_delay_alu instid0(VALU_DEP_1) | instskip(NEXT) | instid1(VALU_DEP_1)
	v_dual_fmac_f32 v2, v4, v4 :: v_dual_add_nc_u32 v4, s4, v1
	v_fmac_f32_e32 v2, v5, v5
	s_wait_xcnt 0x0
	s_delay_alu instid0(VALU_DEP_2)
	v_cmpx_gt_u32_e64 s11, v4
	s_cbranch_execz .LBB12_37
; %bb.41:                               ;   in Loop: Header=BB12_39 Depth=1
	s_clause 0x1
	global_load_b64 v[6:7], v4, s[12:13] scale_offset
	global_load_b64 v[8:9], v4, s[14:15] scale_offset
	s_mov_b32 s21, -1
	s_mov_b32 s20, exec_lo
	s_wait_loadcnt 0x0
	v_dual_lshlrev_b32 v4, 16, v6 :: v_dual_lshlrev_b32 v5, 16, v8
	v_and_b32_e32 v10, 0xffff0000, v6
	v_alignbit_b32 v6, v7, v6, 16
	v_and_b32_e32 v11, 0xffff0000, v8
	v_alignbit_b32 v8, v9, v8, 16
	v_add_f32_e32 v4, v4, v5
	s_delay_alu instid0(VALU_DEP_4) | instskip(NEXT) | instid1(VALU_DEP_4)
	v_and_b32_e32 v5, 0xffff0000, v6
	v_add_f32_e32 v6, v10, v11
	s_delay_alu instid0(VALU_DEP_4) | instskip(NEXT) | instid1(VALU_DEP_4)
	v_and_b32_e32 v8, 0xffff0000, v8
	v_fmac_f32_e32 v2, v4, v4
	v_and_b32_e32 v4, 0xffff0000, v7
	v_and_b32_e32 v7, 0xffff0000, v9
	s_delay_alu instid0(VALU_DEP_3) | instskip(NEXT) | instid1(VALU_DEP_1)
	v_dual_add_f32 v5, v5, v8 :: v_dual_fmac_f32 v2, v6, v6
	v_dual_add_f32 v6, v4, v7 :: v_dual_fmac_f32 v2, v5, v5
	v_add_nc_u32_e32 v4, s5, v1
                                        ; implicit-def: $vgpr1
	s_delay_alu instid0(VALU_DEP_2) | instskip(NEXT) | instid1(VALU_DEP_2)
	v_fmac_f32_e32 v2, v6, v6
	v_cmpx_gt_u32_e64 s11, v4
	s_xor_b32 s20, exec_lo, s20
	s_cbranch_execz .LBB12_36
; %bb.42:                               ;   in Loop: Header=BB12_39 Depth=1
	s_clause 0x1
	global_load_b64 v[6:7], v4, s[12:13] scale_offset
	global_load_b64 v[8:9], v4, s[14:15] scale_offset
	s_wait_loadcnt 0x0
	v_dual_lshlrev_b32 v1, 16, v6 :: v_dual_lshlrev_b32 v4, 16, v8
	v_and_b32_e32 v5, 0xffff0000, v6
	v_alignbit_b32 v6, v7, v6, 16
	v_alignbit_b32 v10, v9, v8, 16
	v_and_b32_e32 v8, 0xffff0000, v8
	v_add_f32_e32 v1, v1, v4
	v_and_b32_e32 v7, 0xffff0000, v7
	v_and_b32_e32 v4, 0xffff0000, v6
	;; [unrolled: 1-line block ×3, first 2 shown]
	s_delay_alu instid0(VALU_DEP_1) | instskip(SKIP_3) | instid1(VALU_DEP_2)
	v_dual_add_f32 v4, v4, v6 :: v_dual_fmac_f32 v2, v1, v1
	v_and_b32_e32 v6, 0xffff0000, v9
	v_add_f32_e32 v5, v5, v8
	v_add3_u32 v1, s7, s3, v3
	v_dual_add_f32 v3, v7, v6 :: v_dual_fmac_f32 v2, v5, v5
	s_delay_alu instid0(VALU_DEP_2) | instskip(NEXT) | instid1(VALU_DEP_2)
	v_cmp_le_u32_e32 vcc_lo, s11, v1
	v_fmac_f32_e32 v2, v4, v4
	s_or_not1_b32 s21, vcc_lo, exec_lo
	s_delay_alu instid0(VALU_DEP_1)
	v_fmac_f32_e32 v2, v3, v3
	s_branch .LBB12_36
.LBB12_43:
	s_or_b32 exec_lo, exec_lo, s6
.LBB12_44:
	s_delay_alu instid0(SALU_CYCLE_1)
	s_or_b32 exec_lo, exec_lo, s2
	v_mbcnt_lo_u32_b32 v1, -1, 0
	s_wait_kmcnt 0x0
	s_cmp_lt_u32 s30, s1
	s_mov_b32 s3, 0
	s_cselect_b32 s2, 12, 18
	v_and_b32_e32 v5, 0x3c0, v0
	v_cmp_ne_u32_e32 vcc_lo, 63, v1
	s_add_nc_u64 s[2:3], s[34:35], s[2:3]
	v_cmp_eq_u32_e64 s6, 0, v1
	s_load_u16 s20, s[2:3], 0x0
	v_add_nc_u32_e32 v6, 1, v1
	v_add_co_ci_u32_e64 v3, null, 0, v1, vcc_lo
	v_cmp_gt_u32_e32 vcc_lo, 62, v1
	s_delay_alu instid0(VALU_DEP_2)
	v_lshlrev_b32_e32 v3, 2, v3
	v_cndmask_b32_e64 v7, 0, 2, vcc_lo
	v_cmp_gt_u32_e32 vcc_lo, 60, v1
	ds_bpermute_b32 v4, v3, v2
	s_wait_kmcnt 0x0
	v_sub_nc_u32_e64 v8, s20, v5 clamp
	s_delay_alu instid0(VALU_DEP_1)
	v_cmp_lt_u32_e64 s1, v6, v8
	v_cndmask_b32_e64 v6, 0, 4, vcc_lo
	v_cmp_gt_u32_e32 vcc_lo, 56, v1
	s_wait_dscnt 0x0
	v_add_f32_e32 v5, v2, v4
	v_add_lshl_u32 v4, v7, v1, 2
	v_add_nc_u32_e32 v7, 2, v1
	s_delay_alu instid0(VALU_DEP_3) | instskip(NEXT) | instid1(VALU_DEP_2)
	v_cndmask_b32_e64 v2, v2, v5, s1
	v_cmp_lt_u32_e64 s2, v7, v8
	v_cndmask_b32_e64 v7, 0, 8, vcc_lo
	v_cmp_gt_u32_e32 vcc_lo, 48, v1
	ds_bpermute_b32 v5, v4, v2
	s_wait_dscnt 0x0
	v_add_f32_e32 v9, v2, v5
	v_add_lshl_u32 v5, v6, v1, 2
	s_delay_alu instid0(VALU_DEP_2) | instskip(SKIP_4) | instid1(VALU_DEP_2)
	v_cndmask_b32_e64 v2, v2, v9, s2
	ds_bpermute_b32 v6, v5, v2
	s_wait_dscnt 0x0
	v_dual_add_f32 v10, v2, v6 :: v_dual_add_nc_u32 v9, 4, v1
	v_add_lshl_u32 v6, v7, v1, 2
	v_cmp_lt_u32_e64 s3, v9, v8
	v_cndmask_b32_e64 v9, 0, 16, vcc_lo
	s_delay_alu instid0(VALU_DEP_2) | instskip(SKIP_3) | instid1(VALU_DEP_1)
	v_cndmask_b32_e64 v2, v2, v10, s3
	ds_bpermute_b32 v7, v6, v2
	s_wait_dscnt 0x0
	v_dual_add_f32 v11, v2, v7 :: v_dual_add_nc_u32 v10, 8, v1
	v_cmp_lt_u32_e64 s4, v10, v8
	v_add_lshl_u32 v7, v9, v1, 2
	s_delay_alu instid0(VALU_DEP_2) | instskip(NEXT) | instid1(VALU_DEP_1)
	v_dual_add_nc_u32 v10, 16, v1 :: v_dual_cndmask_b32 v9, v2, v11, s4
	v_cmp_lt_u32_e64 s5, v10, v8
	ds_bpermute_b32 v2, v7, v9
	s_wait_dscnt 0x0
	v_dual_add_f32 v11, v9, v2 :: v_dual_lshlrev_b32 v2, 2, v1
	s_delay_alu instid0(VALU_DEP_1) | instskip(SKIP_3) | instid1(VALU_DEP_1)
	v_cndmask_b32_e64 v9, v9, v11, s5
	ds_bpermute_b32 v10, v2, v9 offset:128
	s_wait_dscnt 0x0
	v_dual_add_f32 v10, v9, v10 :: v_dual_bitop2_b32 v11, 32, v1 bitop3:0x54
	v_cmp_lt_u32_e64 s8, v11, v8
	s_delay_alu instid0(VALU_DEP_1)
	v_cndmask_b32_e64 v8, v9, v10, s8
	s_and_saveexec_b32 s7, s6
; %bb.45:
	v_lshrrev_b32_e32 v9, 4, v0
	s_delay_alu instid0(VALU_DEP_1)
	v_and_b32_e32 v9, 60, v9
	ds_store_b32 v9, v8
; %bb.46:
	s_or_b32 exec_lo, exec_lo, s7
	v_cmp_gt_u32_e64 s7, 16, v0
	s_wait_storecnt_dscnt 0x0
	s_barrier_signal -1
	s_barrier_wait -1
	s_and_saveexec_b32 s10, s7
	s_cbranch_execz .LBB12_48
; %bb.47:
	ds_load_b32 v8, v2
	v_and_b32_e32 v9, 15, v1
	s_add_co_i32 s9, s20, 63
	s_delay_alu instid0(SALU_CYCLE_1) | instskip(NEXT) | instid1(VALU_DEP_1)
	s_lshr_b32 s21, s9, 6
	v_cmp_ne_u32_e32 vcc_lo, 15, v9
	v_add_co_ci_u32_e64 v10, null, 0, v1, vcc_lo
	s_delay_alu instid0(VALU_DEP_1)
	v_lshlrev_b32_e32 v10, 2, v10
	v_cmp_gt_u32_e32 vcc_lo, 14, v9
	v_cmp_gt_u32_e64 s9, 12, v9
	v_add_nc_u32_e32 v13, 2, v9
	s_wait_dscnt 0x0
	ds_bpermute_b32 v10, v10, v8
	v_add_nc_u32_e32 v12, 1, v9
	v_cndmask_b32_e64 v11, 0, 2, vcc_lo
	s_delay_alu instid0(VALU_DEP_1)
	v_add_lshl_u32 v11, v11, v1, 2
	s_wait_dscnt 0x0
	v_add_f32_e32 v10, v8, v10
	v_cmp_gt_u32_e32 vcc_lo, s21, v12
	v_cndmask_b32_e64 v12, 0, 4, s9
	v_cmp_gt_u32_e64 s9, s21, v13
	s_delay_alu instid0(VALU_DEP_4) | instskip(NEXT) | instid1(VALU_DEP_3)
	v_cndmask_b32_e32 v10, v8, v10, vcc_lo
	v_add_lshl_u32 v12, v12, v1, 2
	ds_bpermute_b32 v11, v11, v10
	s_wait_dscnt 0x0
	v_add_f32_e32 v11, v10, v11
	s_delay_alu instid0(VALU_DEP_1) | instskip(SKIP_2) | instid1(VALU_DEP_1)
	v_cndmask_b32_e64 v10, v10, v11, s9
	ds_bpermute_b32 v11, v12, v10
	v_dual_add_nc_u32 v12, 4, v9 :: v_dual_add_nc_u32 v9, 8, v9
	v_cmp_gt_u32_e64 s9, s21, v12
	s_wait_dscnt 0x0
	v_add_f32_e32 v11, v10, v11
	s_delay_alu instid0(VALU_DEP_1) | instskip(SKIP_4) | instid1(VALU_DEP_1)
	v_dual_cndmask_b32 v10, v10, v11, s9 :: v_dual_bitop2_b32 v11, 32, v2 bitop3:0x54
	v_cmp_gt_u32_e64 s9, s21, v9
	ds_bpermute_b32 v11, v11, v10
	s_wait_dscnt 0x0
	v_add_f32_e32 v11, v10, v11
	v_cndmask_b32_e64 v9, v10, v11, s9
	s_delay_alu instid0(VALU_DEP_1)
	v_cndmask_b32_e32 v8, v8, v9, vcc_lo
.LBB12_48:
	s_or_b32 exec_lo, exec_lo, s10
	v_cmp_eq_u32_e64 s9, 0, v0
	s_and_saveexec_b32 s10, s9
	s_cbranch_execz .LBB12_50
; %bb.49:
	s_cvt_f32_i32 s21, s27
	s_delay_alu instid0(SALU_CYCLE_3) | instskip(SKIP_1) | instid1(VALU_DEP_2)
	v_div_scale_f32 v9, null, s21, s21, v8
	v_div_scale_f32 v12, vcc_lo, v8, s21, v8
	v_rcp_f32_e32 v10, v9
	v_nop
	s_delay_alu instid0(TRANS32_DEP_1) | instskip(NEXT) | instid1(VALU_DEP_1)
	v_fma_f32 v11, -v9, v10, 1.0
	v_fmac_f32_e32 v10, v11, v10
	s_delay_alu instid0(VALU_DEP_1) | instskip(NEXT) | instid1(VALU_DEP_1)
	v_mul_f32_e32 v11, v12, v10
	v_fma_f32 v13, -v9, v11, v12
	s_delay_alu instid0(VALU_DEP_1) | instskip(NEXT) | instid1(VALU_DEP_1)
	v_fmac_f32_e32 v11, v13, v10
	v_fma_f32 v9, -v9, v11, v12
	s_delay_alu instid0(VALU_DEP_1) | instskip(NEXT) | instid1(VALU_DEP_1)
	v_div_fmas_f32 v9, v9, v10, v11
	v_div_fixup_f32 v8, v9, s21, v8
	s_delay_alu instid0(VALU_DEP_1) | instskip(NEXT) | instid1(VALU_DEP_1)
	v_add_f32_e32 v8, s26, v8
	v_mul_f32_e32 v9, 0x4b800000, v8
	v_cmp_gt_f32_e32 vcc_lo, 0x800000, v8
	s_delay_alu instid0(VALU_DEP_2) | instskip(NEXT) | instid1(VALU_DEP_1)
	v_cndmask_b32_e32 v8, v8, v9, vcc_lo
	v_rsq_f32_e32 v8, v8
	v_nop
	s_delay_alu instid0(TRANS32_DEP_1) | instskip(NEXT) | instid1(VALU_DEP_1)
	v_mul_f32_e32 v9, 0x45800000, v8
	v_dual_cndmask_b32 v8, v8, v9 :: v_dual_mov_b32 v9, 0
	ds_store_b32 v9, v8 offset:256
.LBB12_50:
	s_or_b32 exec_lo, exec_lo, s10
	v_mov_b32_e32 v9, 0
	s_wait_dscnt 0x0
	s_barrier_signal -1
	s_barrier_wait -1
	ds_load_b32 v8, v9 offset:256
	s_and_saveexec_b32 s21, s0
	s_cbranch_execz .LBB12_60
; %bb.51:
	v_dual_mov_b32 v9, 0 :: v_dual_mov_b32 v10, v0
	s_lshl_b32 s26, s20, 1
	s_mul_i32 s33, s20, 3
	s_mov_b32 s27, 0
	s_add_co_i32 s34, s20, s20
                                        ; implicit-def: $sgpr35
	s_branch .LBB12_55
.LBB12_52:                              ;   in Loop: Header=BB12_55 Depth=1
	s_or_b32 exec_lo, exec_lo, s38
	s_delay_alu instid0(SALU_CYCLE_1)
	s_or_not1_b32 s10, s10, exec_lo
.LBB12_53:                              ;   in Loop: Header=BB12_55 Depth=1
	s_or_b32 exec_lo, exec_lo, s37
	s_delay_alu instid0(SALU_CYCLE_1) | instskip(SKIP_1) | instid1(SALU_CYCLE_1)
	s_and_not1_b32 s35, s35, exec_lo
	s_and_b32 s10, s10, exec_lo
	s_or_b32 s35, s35, s10
.LBB12_54:                              ;   in Loop: Header=BB12_55 Depth=1
	s_or_b32 exec_lo, exec_lo, s36
	s_delay_alu instid0(SALU_CYCLE_1) | instskip(NEXT) | instid1(SALU_CYCLE_1)
	s_and_b32 s10, exec_lo, s35
	s_or_b32 s27, s10, s27
	s_delay_alu instid0(SALU_CYCLE_1)
	s_and_not1_b32 exec_lo, exec_lo, s27
	s_cbranch_execz .LBB12_59
.LBB12_55:                              ; =>This Inner Loop Header: Depth=1
	s_clause 0x2
	global_load_b64 v[12:13], v10, s[12:13] scale_offset
	global_load_b64 v[14:15], v10, s[14:15] scale_offset
	;; [unrolled: 1-line block ×3, first 2 shown]
	s_or_b32 s35, s35, exec_lo
	s_mov_b32 s36, exec_lo
	s_wait_loadcnt 0x1
	v_dual_lshlrev_b32 v11, 16, v12 :: v_dual_lshlrev_b32 v18, 16, v14
	v_and_b32_e32 v19, 0xffff0000, v14
	v_alignbit_b32 v14, v15, v14, 16
	v_and_b32_e32 v15, 0xffff0000, v15
	s_delay_alu instid0(VALU_DEP_4) | instskip(SKIP_4) | instid1(VALU_DEP_4)
	v_add_f32_e32 v11, v11, v18
	v_and_b32_e32 v18, 0xffff0000, v12
	v_alignbit_b32 v12, v13, v12, 16
	v_and_b32_e32 v14, 0xffff0000, v14
	v_and_b32_e32 v13, 0xffff0000, v13
	v_add_f32_e32 v18, v18, v19
	s_wait_dscnt 0x0
	v_mul_f32_e32 v11, v8, v11
	v_and_b32_e32 v12, 0xffff0000, v12
	s_delay_alu instid0(VALU_DEP_3) | instskip(NEXT) | instid1(VALU_DEP_3)
	v_dual_add_f32 v13, v13, v15 :: v_dual_mul_f32 v18, v8, v18
	v_bfe_u32 v20, v11, 16, 1
	v_cmp_o_f32_e32 vcc_lo, v11, v11
	s_delay_alu instid0(VALU_DEP_4) | instskip(NEXT) | instid1(VALU_DEP_4)
	v_dual_add_f32 v12, v12, v14 :: v_dual_max_num_f32 v14, v9, v9
	v_bfe_u32 v21, v18, 16, 1
	s_delay_alu instid0(VALU_DEP_4) | instskip(NEXT) | instid1(VALU_DEP_3)
	v_add3_u32 v19, v11, v20, 0x7fff
	v_mul_f32_e32 v12, v8, v12
	s_delay_alu instid0(VALU_DEP_2) | instskip(SKIP_2) | instid1(VALU_DEP_3)
	v_and_b32_e32 v19, 0xffff0000, v19
	s_wait_loadcnt 0x0
	v_lshlrev_b32_e32 v20, 16, v16
	v_bfe_u32 v22, v12, 16, 1
	s_delay_alu instid0(VALU_DEP_3) | instskip(SKIP_4) | instid1(VALU_DEP_4)
	v_cndmask_b32_e32 v11, 0x7fc00000, v19, vcc_lo
	v_add3_u32 v19, v18, v21, 0x7fff
	v_cmp_o_f32_e32 vcc_lo, v18, v18
	v_and_b32_e32 v21, 0xffff0000, v16
	v_alignbit_b32 v16, v17, v16, 16
	v_and_b32_e32 v19, 0xffff0000, v19
	v_mul_f32_e32 v11, v11, v20
	s_delay_alu instid0(VALU_DEP_3) | instskip(NEXT) | instid1(VALU_DEP_3)
	v_and_b32_e32 v16, 0xffff0000, v16
	v_cndmask_b32_e32 v18, 0x7fc00000, v19, vcc_lo
	v_add3_u32 v19, v12, v22, 0x7fff
	s_delay_alu instid0(VALU_DEP_4) | instskip(SKIP_1) | instid1(VALU_DEP_3)
	v_bfe_u32 v20, v11, 16, 1
	v_cmp_o_f32_e32 vcc_lo, v12, v12
	v_and_b32_e32 v19, 0xffff0000, v19
	s_delay_alu instid0(VALU_DEP_3) | instskip(NEXT) | instid1(VALU_DEP_2)
	v_add3_u32 v15, v11, v20, 0x7fff
	v_dual_mul_f32 v13, v8, v13 :: v_dual_cndmask_b32 v12, 0x7fc00000, v19
	v_mul_f32_e32 v18, v18, v21
	s_delay_alu instid0(VALU_DEP_3) | instskip(NEXT) | instid1(VALU_DEP_3)
	v_and_b32_e32 v15, 0xffff0000, v15
	v_bfe_u32 v21, v13, 16, 1
	v_cmp_u_f32_e32 vcc_lo, v11, v11
	v_mul_f32_e32 v12, v12, v16
	v_bfe_u32 v20, v18, 16, 1
	v_max_num_f32_e64 v15, |v15|, |v15|
	v_and_b32_e32 v11, 0xffff0000, v17
	s_delay_alu instid0(VALU_DEP_3) | instskip(NEXT) | instid1(VALU_DEP_3)
	v_add3_u32 v19, v18, v20, 0x7fff
	v_max_num_f32_e32 v14, v14, v15
	v_add3_u32 v15, v13, v21, 0x7fff
	s_delay_alu instid0(VALU_DEP_3) | instskip(NEXT) | instid1(VALU_DEP_1)
	v_and_b32_e32 v16, 0xffff0000, v19
	v_max_num_f32_e64 v16, |v16|, |v16|
	s_delay_alu instid0(VALU_DEP_4) | instskip(NEXT) | instid1(VALU_DEP_4)
	v_cndmask_b32_e32 v9, v14, v9, vcc_lo
	v_and_b32_e32 v14, 0xffff0000, v15
	v_bfe_u32 v15, v12, 16, 1
	v_cmp_o_f32_e32 vcc_lo, v13, v13
	s_delay_alu instid0(VALU_DEP_4) | instskip(NEXT) | instid1(VALU_DEP_4)
	v_max_num_f32_e32 v17, v9, v9
	v_cndmask_b32_e32 v13, 0x7fc00000, v14, vcc_lo
	s_delay_alu instid0(VALU_DEP_4) | instskip(NEXT) | instid1(VALU_DEP_3)
	v_add3_u32 v14, v12, v15, 0x7fff
	v_max_num_f32_e32 v15, v17, v16
	v_cmp_u_f32_e32 vcc_lo, v18, v18
	s_delay_alu instid0(VALU_DEP_4) | instskip(NEXT) | instid1(VALU_DEP_4)
	v_mul_f32_e32 v13, v13, v11
	v_and_b32_e32 v11, 0xffff0000, v14
	s_delay_alu instid0(VALU_DEP_4) | instskip(SKIP_1) | instid1(VALU_DEP_4)
	v_cndmask_b32_e32 v9, v15, v9, vcc_lo
	v_cmp_u_f32_e32 vcc_lo, v12, v12
	v_bfe_u32 v14, v13, 16, 1
	s_delay_alu instid0(VALU_DEP_4) | instskip(NEXT) | instid1(VALU_DEP_4)
	v_max_num_f32_e64 v11, |v11|, |v11|
	v_max_num_f32_e32 v15, v9, v9
	s_delay_alu instid0(VALU_DEP_3) | instskip(NEXT) | instid1(VALU_DEP_2)
	v_add3_u32 v14, v13, v14, 0x7fff
	v_max_num_f32_e32 v11, v15, v11
	s_delay_alu instid0(VALU_DEP_2) | instskip(NEXT) | instid1(VALU_DEP_2)
	v_and_b32_e32 v14, 0xffff0000, v14
	v_cndmask_b32_e32 v9, v11, v9, vcc_lo
	v_cmp_u_f32_e32 vcc_lo, v13, v13
	s_delay_alu instid0(VALU_DEP_3) | instskip(NEXT) | instid1(VALU_DEP_3)
	v_max_num_f32_e64 v11, |v14|, |v14|
	v_max_num_f32_e32 v12, v9, v9
	s_delay_alu instid0(VALU_DEP_1) | instskip(NEXT) | instid1(VALU_DEP_1)
	v_dual_max_num_f32 v12, v12, v11 :: v_dual_add_nc_u32 v11, s20, v10
	v_cndmask_b32_e32 v9, v12, v9, vcc_lo
	s_delay_alu instid0(VALU_DEP_2)
	v_cmpx_gt_u32_e64 s11, v11
	s_cbranch_execz .LBB12_54
; %bb.56:                               ;   in Loop: Header=BB12_55 Depth=1
	s_clause 0x2
	global_load_b64 v[12:13], v11, s[12:13] scale_offset
	global_load_b64 v[14:15], v11, s[14:15] scale_offset
	;; [unrolled: 1-line block ×3, first 2 shown]
	s_mov_b32 s10, -1
	s_mov_b32 s37, exec_lo
	s_wait_loadcnt 0x1
	v_dual_lshlrev_b32 v18, 16, v12 :: v_dual_lshlrev_b32 v19, 16, v14
	v_and_b32_e32 v20, 0xffff0000, v14
	v_alignbit_b32 v14, v15, v14, 16
	v_and_b32_e32 v15, 0xffff0000, v15
	s_delay_alu instid0(VALU_DEP_4) | instskip(SKIP_4) | instid1(VALU_DEP_4)
	v_add_f32_e32 v18, v18, v19
	v_and_b32_e32 v19, 0xffff0000, v12
	v_alignbit_b32 v12, v13, v12, 16
	v_and_b32_e32 v14, 0xffff0000, v14
	v_and_b32_e32 v13, 0xffff0000, v13
	v_dual_add_f32 v19, v19, v20 :: v_dual_mul_f32 v18, v8, v18
	s_delay_alu instid0(VALU_DEP_4) | instskip(NEXT) | instid1(VALU_DEP_3)
	v_and_b32_e32 v12, 0xffff0000, v12
	v_add_f32_e32 v13, v13, v15
	s_delay_alu instid0(VALU_DEP_3) | instskip(NEXT) | instid1(VALU_DEP_4)
	v_mul_f32_e32 v19, v8, v19
	v_bfe_u32 v21, v18, 16, 1
	v_cmp_o_f32_e32 vcc_lo, v18, v18
	v_dual_add_f32 v12, v12, v14 :: v_dual_max_num_f32 v14, v9, v9
	s_delay_alu instid0(VALU_DEP_4) | instskip(NEXT) | instid1(VALU_DEP_4)
	v_bfe_u32 v22, v19, 16, 1
	v_add3_u32 v20, v18, v21, 0x7fff
	s_wait_loadcnt 0x0
	v_lshlrev_b32_e32 v21, 16, v16
	v_dual_mul_f32 v12, v8, v12 :: v_dual_mul_f32 v13, v8, v13
	s_delay_alu instid0(VALU_DEP_3) | instskip(NEXT) | instid1(VALU_DEP_2)
	v_and_b32_e32 v20, 0xffff0000, v20
	v_bfe_u32 v23, v12, 16, 1
	s_delay_alu instid0(VALU_DEP_2) | instskip(SKIP_4) | instid1(VALU_DEP_4)
	v_cndmask_b32_e32 v18, 0x7fc00000, v20, vcc_lo
	v_add3_u32 v20, v19, v22, 0x7fff
	v_cmp_o_f32_e32 vcc_lo, v19, v19
	v_and_b32_e32 v22, 0xffff0000, v16
	v_alignbit_b32 v16, v17, v16, 16
	v_and_b32_e32 v20, 0xffff0000, v20
	v_mul_f32_e32 v18, v18, v21
	s_delay_alu instid0(VALU_DEP_3) | instskip(NEXT) | instid1(VALU_DEP_3)
	v_and_b32_e32 v16, 0xffff0000, v16
	v_cndmask_b32_e32 v19, 0x7fc00000, v20, vcc_lo
	s_delay_alu instid0(VALU_DEP_3) | instskip(SKIP_2) | instid1(VALU_DEP_4)
	v_bfe_u32 v21, v18, 16, 1
	v_add3_u32 v20, v12, v23, 0x7fff
	v_cmp_o_f32_e32 vcc_lo, v12, v12
	v_mul_f32_e32 v19, v19, v22
	s_delay_alu instid0(VALU_DEP_4) | instskip(NEXT) | instid1(VALU_DEP_4)
	v_add3_u32 v15, v18, v21, 0x7fff
	v_and_b32_e32 v20, 0xffff0000, v20
	v_bfe_u32 v22, v13, 16, 1
	s_delay_alu instid0(VALU_DEP_4) | instskip(NEXT) | instid1(VALU_DEP_4)
	v_bfe_u32 v21, v19, 16, 1
	v_and_b32_e32 v15, 0xffff0000, v15
	s_delay_alu instid0(VALU_DEP_4) | instskip(SKIP_1) | instid1(VALU_DEP_4)
	v_cndmask_b32_e32 v12, 0x7fc00000, v20, vcc_lo
	v_cmp_u_f32_e32 vcc_lo, v18, v18
	v_add3_u32 v20, v19, v21, 0x7fff
	s_delay_alu instid0(VALU_DEP_4) | instskip(NEXT) | instid1(VALU_DEP_1)
	v_max_num_f32_e64 v15, |v15|, |v15|
	v_max_num_f32_e32 v14, v14, v15
	v_add3_u32 v15, v13, v22, 0x7fff
	s_delay_alu instid0(VALU_DEP_2) | instskip(NEXT) | instid1(VALU_DEP_2)
	v_cndmask_b32_e32 v9, v14, v9, vcc_lo
	v_and_b32_e32 v15, 0xffff0000, v15
	v_cmp_o_f32_e32 vcc_lo, v13, v13
	v_and_b32_e32 v14, 0xffff0000, v17
	s_delay_alu instid0(VALU_DEP_3) | instskip(SKIP_1) | instid1(VALU_DEP_2)
	v_dual_max_num_f32 v18, v9, v9 :: v_dual_cndmask_b32 v13, 0x7fc00000, v15
	v_cmp_u_f32_e32 vcc_lo, v19, v19
	v_dual_mul_f32 v13, v13, v14 :: v_dual_mul_f32 v12, v12, v16
	v_and_b32_e32 v16, 0xffff0000, v20
	s_delay_alu instid0(VALU_DEP_2) | instskip(NEXT) | instid1(VALU_DEP_2)
	v_bfe_u32 v17, v12, 16, 1
	v_max_num_f32_e64 v16, |v16|, |v16|
	s_delay_alu instid0(VALU_DEP_2) | instskip(NEXT) | instid1(VALU_DEP_2)
	v_add3_u32 v15, v12, v17, 0x7fff
	v_max_num_f32_e32 v16, v18, v16
	s_delay_alu instid0(VALU_DEP_2) | instskip(NEXT) | instid1(VALU_DEP_2)
	v_and_b32_e32 v14, 0xffff0000, v15
	v_cndmask_b32_e32 v9, v16, v9, vcc_lo
	v_bfe_u32 v15, v13, 16, 1
	v_cmp_u_f32_e32 vcc_lo, v12, v12
	s_delay_alu instid0(VALU_DEP_4) | instskip(NEXT) | instid1(VALU_DEP_4)
	v_max_num_f32_e64 v14, |v14|, |v14|
	v_max_num_f32_e32 v16, v9, v9
	s_delay_alu instid0(VALU_DEP_4) | instskip(NEXT) | instid1(VALU_DEP_2)
	v_add3_u32 v15, v13, v15, 0x7fff
	v_max_num_f32_e32 v14, v16, v14
	s_delay_alu instid0(VALU_DEP_2) | instskip(NEXT) | instid1(VALU_DEP_2)
	v_and_b32_e32 v15, 0xffff0000, v15
	v_cndmask_b32_e32 v9, v14, v9, vcc_lo
	s_delay_alu instid0(VALU_DEP_2) | instskip(SKIP_1) | instid1(VALU_DEP_3)
	v_max_num_f32_e64 v12, |v15|, |v15|
	v_cmp_u_f32_e32 vcc_lo, v13, v13
	v_max_num_f32_e32 v14, v9, v9
	s_delay_alu instid0(VALU_DEP_1) | instskip(NEXT) | instid1(VALU_DEP_1)
	v_dual_max_num_f32 v14, v14, v12 :: v_dual_add_nc_u32 v12, s26, v10
	v_cndmask_b32_e32 v9, v14, v9, vcc_lo
	s_delay_alu instid0(VALU_DEP_2)
	v_cmpx_gt_u32_e64 s11, v12
	s_cbranch_execz .LBB12_53
; %bb.57:                               ;   in Loop: Header=BB12_55 Depth=1
	s_clause 0x2
	global_load_b64 v[14:15], v12, s[12:13] scale_offset
	global_load_b64 v[16:17], v12, s[14:15] scale_offset
	;; [unrolled: 1-line block ×3, first 2 shown]
	s_mov_b32 s38, exec_lo
	s_wait_loadcnt 0x1
	s_wait_xcnt 0x0
	v_dual_lshlrev_b32 v12, 16, v14 :: v_dual_lshlrev_b32 v13, 16, v16
	v_and_b32_e32 v20, 0xffff0000, v16
	v_alignbit_b32 v16, v17, v16, 16
	v_and_b32_e32 v17, 0xffff0000, v17
	s_delay_alu instid0(VALU_DEP_4) | instskip(SKIP_4) | instid1(VALU_DEP_4)
	v_add_f32_e32 v12, v12, v13
	v_and_b32_e32 v13, 0xffff0000, v14
	v_alignbit_b32 v14, v15, v14, 16
	v_and_b32_e32 v16, 0xffff0000, v16
	v_and_b32_e32 v15, 0xffff0000, v15
	v_add_f32_e32 v13, v13, v20
	v_mul_f32_e32 v12, v8, v12
	v_and_b32_e32 v14, 0xffff0000, v14
	s_delay_alu instid0(VALU_DEP_4) | instskip(NEXT) | instid1(VALU_DEP_4)
	v_add_f32_e32 v15, v15, v17
	v_mul_f32_e32 v13, v8, v13
	s_delay_alu instid0(VALU_DEP_4) | instskip(SKIP_2) | instid1(VALU_DEP_4)
	v_bfe_u32 v21, v12, 16, 1
	v_cmp_o_f32_e32 vcc_lo, v12, v12
	v_dual_add_f32 v14, v14, v16 :: v_dual_max_num_f32 v16, v9, v9
	v_bfe_u32 v22, v13, 16, 1
	s_delay_alu instid0(VALU_DEP_4) | instskip(NEXT) | instid1(VALU_DEP_3)
	v_add3_u32 v20, v12, v21, 0x7fff
	v_dual_mul_f32 v15, v8, v15 :: v_dual_mul_f32 v14, v8, v14
	s_delay_alu instid0(VALU_DEP_2) | instskip(SKIP_2) | instid1(VALU_DEP_3)
	v_and_b32_e32 v20, 0xffff0000, v20
	s_wait_loadcnt 0x0
	v_lshlrev_b32_e32 v21, 16, v18
	v_bfe_u32 v23, v14, 16, 1
	s_delay_alu instid0(VALU_DEP_3) | instskip(SKIP_4) | instid1(VALU_DEP_4)
	v_cndmask_b32_e32 v12, 0x7fc00000, v20, vcc_lo
	v_add3_u32 v20, v13, v22, 0x7fff
	v_cmp_o_f32_e32 vcc_lo, v13, v13
	v_and_b32_e32 v22, 0xffff0000, v18
	v_alignbit_b32 v18, v19, v18, 16
	v_and_b32_e32 v20, 0xffff0000, v20
	v_mul_f32_e32 v12, v12, v21
	s_delay_alu instid0(VALU_DEP_3) | instskip(NEXT) | instid1(VALU_DEP_3)
	v_and_b32_e32 v18, 0xffff0000, v18
	v_cndmask_b32_e32 v13, 0x7fc00000, v20, vcc_lo
	s_delay_alu instid0(VALU_DEP_3) | instskip(SKIP_2) | instid1(VALU_DEP_4)
	v_bfe_u32 v21, v12, 16, 1
	v_add3_u32 v20, v14, v23, 0x7fff
	v_cmp_o_f32_e32 vcc_lo, v14, v14
	v_mul_f32_e32 v13, v13, v22
	s_delay_alu instid0(VALU_DEP_4) | instskip(NEXT) | instid1(VALU_DEP_4)
	v_add3_u32 v17, v12, v21, 0x7fff
	v_and_b32_e32 v20, 0xffff0000, v20
	v_bfe_u32 v22, v15, 16, 1
	s_delay_alu instid0(VALU_DEP_4) | instskip(NEXT) | instid1(VALU_DEP_4)
	v_bfe_u32 v21, v13, 16, 1
	v_and_b32_e32 v17, 0xffff0000, v17
	s_delay_alu instid0(VALU_DEP_4) | instskip(SKIP_4) | instid1(VALU_DEP_1)
	v_cndmask_b32_e32 v14, 0x7fc00000, v20, vcc_lo
	v_cmp_u_f32_e32 vcc_lo, v12, v12
	v_and_b32_e32 v12, 0xffff0000, v19
	v_add3_u32 v20, v13, v21, 0x7fff
	v_max_num_f32_e64 v17, |v17|, |v17|
	v_max_num_f32_e32 v16, v16, v17
	v_add3_u32 v17, v15, v22, 0x7fff
	s_delay_alu instid0(VALU_DEP_2) | instskip(NEXT) | instid1(VALU_DEP_2)
	v_cndmask_b32_e32 v9, v16, v9, vcc_lo
	v_and_b32_e32 v16, 0xffff0000, v17
	v_cmp_o_f32_e32 vcc_lo, v15, v15
	s_delay_alu instid0(VALU_DEP_3) | instskip(SKIP_1) | instid1(VALU_DEP_4)
	v_dual_max_num_f32 v19, v9, v9 :: v_dual_mul_f32 v14, v14, v18
	v_and_b32_e32 v18, 0xffff0000, v20
	v_cndmask_b32_e32 v15, 0x7fc00000, v16, vcc_lo
	v_cmp_u_f32_e32 vcc_lo, v13, v13
	s_delay_alu instid0(VALU_DEP_4) | instskip(NEXT) | instid1(VALU_DEP_4)
	v_bfe_u32 v17, v14, 16, 1
	v_max_num_f32_e64 v18, |v18|, |v18|
	s_delay_alu instid0(VALU_DEP_2) | instskip(NEXT) | instid1(VALU_DEP_2)
	v_add3_u32 v16, v14, v17, 0x7fff
	v_max_num_f32_e32 v17, v19, v18
	v_mul_f32_e32 v15, v15, v12
	s_delay_alu instid0(VALU_DEP_3) | instskip(NEXT) | instid1(VALU_DEP_3)
	v_and_b32_e32 v12, 0xffff0000, v16
	v_cndmask_b32_e32 v9, v17, v9, vcc_lo
	s_delay_alu instid0(VALU_DEP_3) | instskip(SKIP_1) | instid1(VALU_DEP_4)
	v_bfe_u32 v13, v15, 16, 1
	v_cmp_u_f32_e32 vcc_lo, v14, v14
	v_max_num_f32_e64 v12, |v12|, |v12|
	s_delay_alu instid0(VALU_DEP_4) | instskip(NEXT) | instid1(VALU_DEP_4)
	v_max_num_f32_e32 v16, v9, v9
	v_add3_u32 v13, v15, v13, 0x7fff
	s_delay_alu instid0(VALU_DEP_2) | instskip(NEXT) | instid1(VALU_DEP_2)
	v_max_num_f32_e32 v12, v16, v12
	v_and_b32_e32 v13, 0xffff0000, v13
	s_delay_alu instid0(VALU_DEP_2) | instskip(NEXT) | instid1(VALU_DEP_2)
	v_cndmask_b32_e32 v9, v12, v9, vcc_lo
	v_max_num_f32_e64 v12, |v13|, |v13|
	v_cmp_u_f32_e32 vcc_lo, v15, v15
	s_delay_alu instid0(VALU_DEP_3) | instskip(NEXT) | instid1(VALU_DEP_1)
	v_max_num_f32_e32 v13, v9, v9
	v_dual_max_num_f32 v13, v13, v12 :: v_dual_add_nc_u32 v12, s33, v10
                                        ; implicit-def: $vgpr10
	s_delay_alu instid0(VALU_DEP_1) | instskip(NEXT) | instid1(VALU_DEP_2)
	v_cndmask_b32_e32 v9, v13, v9, vcc_lo
	v_cmpx_gt_u32_e64 s11, v12
	s_xor_b32 s38, exec_lo, s38
	s_cbranch_execz .LBB12_52
; %bb.58:                               ;   in Loop: Header=BB12_55 Depth=1
	s_clause 0x2
	global_load_b64 v[14:15], v12, s[12:13] scale_offset
	global_load_b64 v[16:17], v12, s[14:15] scale_offset
	;; [unrolled: 1-line block ×3, first 2 shown]
	s_wait_loadcnt 0x1
	s_wait_xcnt 0x0
	v_dual_lshlrev_b32 v10, 16, v14 :: v_dual_lshlrev_b32 v12, 16, v16
	v_and_b32_e32 v13, 0xffff0000, v16
	v_alignbit_b32 v16, v17, v16, 16
	s_delay_alu instid0(VALU_DEP_3) | instskip(SKIP_1) | instid1(VALU_DEP_3)
	v_add_f32_e32 v10, v10, v12
	v_and_b32_e32 v12, 0xffff0000, v14
	v_and_b32_e32 v16, 0xffff0000, v16
	s_delay_alu instid0(VALU_DEP_2) | instskip(NEXT) | instid1(VALU_DEP_4)
	v_add_f32_e32 v12, v12, v13
	v_mul_f32_e32 v10, v8, v10
	v_alignbit_b32 v13, v15, v14, 16
	v_and_b32_e32 v15, 0xffff0000, v15
	s_delay_alu instid0(VALU_DEP_4) | instskip(NEXT) | instid1(VALU_DEP_4)
	v_mul_f32_e32 v12, v8, v12
	v_bfe_u32 v20, v10, 16, 1
	s_delay_alu instid0(VALU_DEP_4) | instskip(SKIP_1) | instid1(VALU_DEP_4)
	v_and_b32_e32 v13, 0xffff0000, v13
	v_cmp_o_f32_e32 vcc_lo, v10, v10
	v_bfe_u32 v21, v12, 16, 1
	s_delay_alu instid0(VALU_DEP_4) | instskip(SKIP_2) | instid1(VALU_DEP_2)
	v_add3_u32 v14, v10, v20, 0x7fff
	s_wait_loadcnt 0x0
	v_dual_add_f32 v13, v13, v16 :: v_dual_lshlrev_b32 v20, 16, v18
	v_and_b32_e32 v14, 0xffff0000, v14
	s_delay_alu instid0(VALU_DEP_1) | instskip(SKIP_3) | instid1(VALU_DEP_4)
	v_dual_mul_f32 v13, v8, v13 :: v_dual_cndmask_b32 v10, 0x7fc00000, v14
	v_add3_u32 v14, v12, v21, 0x7fff
	v_max_num_f32_e32 v16, v9, v9
	v_cmp_o_f32_e32 vcc_lo, v12, v12
	v_bfe_u32 v22, v13, 16, 1
	v_mul_f32_e32 v10, v10, v20
	v_and_b32_e32 v14, 0xffff0000, v14
	v_and_b32_e32 v20, 0xffff0000, v18
	v_alignbit_b32 v18, v19, v18, 16
	s_delay_alu instid0(VALU_DEP_4) | instskip(NEXT) | instid1(VALU_DEP_4)
	v_bfe_u32 v21, v10, 16, 1
	v_cndmask_b32_e32 v12, 0x7fc00000, v14, vcc_lo
	v_and_b32_e32 v14, 0xffff0000, v17
	v_cmp_o_f32_e32 vcc_lo, v13, v13
	s_delay_alu instid0(VALU_DEP_4) | instskip(SKIP_1) | instid1(VALU_DEP_4)
	v_add3_u32 v17, v10, v21, 0x7fff
	v_add3_u32 v21, v13, v22, 0x7fff
	v_add_f32_e32 v14, v15, v14
	s_delay_alu instid0(VALU_DEP_3) | instskip(SKIP_1) | instid1(VALU_DEP_4)
	v_and_b32_e32 v15, 0xffff0000, v17
	v_and_b32_e32 v17, 0xffff0000, v18
	;; [unrolled: 1-line block ×3, first 2 shown]
	s_delay_alu instid0(VALU_DEP_3) | instskip(NEXT) | instid1(VALU_DEP_2)
	v_max_num_f32_e64 v15, |v15|, |v15|
	v_cndmask_b32_e32 v13, 0x7fc00000, v18, vcc_lo
	v_cmp_u_f32_e32 vcc_lo, v10, v10
	s_delay_alu instid0(VALU_DEP_3) | instskip(NEXT) | instid1(VALU_DEP_3)
	v_max_num_f32_e32 v15, v16, v15
	v_dual_mul_f32 v12, v12, v20 :: v_dual_mul_f32 v13, v13, v17
	s_delay_alu instid0(VALU_DEP_2) | instskip(NEXT) | instid1(VALU_DEP_2)
	v_dual_mul_f32 v14, v8, v14 :: v_dual_cndmask_b32 v9, v15, v9
	v_bfe_u32 v20, v12, 16, 1
	s_delay_alu instid0(VALU_DEP_3) | instskip(NEXT) | instid1(VALU_DEP_3)
	v_bfe_u32 v15, v13, 16, 1
	v_bfe_u32 v16, v14, 16, 1
	v_cmp_o_f32_e32 vcc_lo, v14, v14
	s_delay_alu instid0(VALU_DEP_4) | instskip(NEXT) | instid1(VALU_DEP_4)
	v_add3_u32 v18, v12, v20, 0x7fff
	v_add3_u32 v15, v13, v15, 0x7fff
	s_delay_alu instid0(VALU_DEP_4) | instskip(NEXT) | instid1(VALU_DEP_3)
	v_add3_u32 v10, v14, v16, 0x7fff
	v_and_b32_e32 v17, 0xffff0000, v18
	v_and_b32_e32 v18, 0xffff0000, v19
	s_delay_alu instid0(VALU_DEP_3) | instskip(SKIP_1) | instid1(VALU_DEP_4)
	v_and_b32_e32 v10, 0xffff0000, v10
	v_and_b32_e32 v14, 0xffff0000, v15
	v_max_num_f32_e64 v16, |v17|, |v17|
	s_delay_alu instid0(VALU_DEP_3) | instskip(SKIP_1) | instid1(VALU_DEP_2)
	v_dual_max_num_f32 v17, v9, v9 :: v_dual_cndmask_b32 v10, 0x7fc00000, v10
	v_cmp_u_f32_e32 vcc_lo, v12, v12
	v_dual_max_num_f32 v16, v17, v16 :: v_dual_mul_f32 v12, v10, v18
	v_max_num_f32_e64 v10, |v14|, |v14|
	s_delay_alu instid0(VALU_DEP_2) | instskip(NEXT) | instid1(VALU_DEP_3)
	v_cndmask_b32_e32 v9, v16, v9, vcc_lo
	v_bfe_u32 v15, v12, 16, 1
	v_cmp_u_f32_e32 vcc_lo, v13, v13
	v_cmp_u_f32_e64 s10, v12, v12
	s_delay_alu instid0(VALU_DEP_4) | instskip(NEXT) | instid1(VALU_DEP_1)
	v_max_num_f32_e32 v14, v9, v9
	v_max_num_f32_e32 v10, v14, v10
	v_add3_u32 v14, v12, v15, 0x7fff
	s_delay_alu instid0(VALU_DEP_2) | instskip(NEXT) | instid1(VALU_DEP_2)
	v_cndmask_b32_e32 v9, v10, v9, vcc_lo
	v_and_b32_e32 v10, 0xffff0000, v14
	s_delay_alu instid0(VALU_DEP_2) | instskip(NEXT) | instid1(VALU_DEP_2)
	v_max_num_f32_e32 v13, v9, v9
	v_max_num_f32_e64 v14, |v10|, |v10|
	v_add3_u32 v10, s34, s20, v11
	s_delay_alu instid0(VALU_DEP_2) | instskip(NEXT) | instid1(VALU_DEP_2)
	v_max_num_f32_e32 v11, v13, v14
	v_cmp_le_u32_e32 vcc_lo, s11, v10
	s_delay_alu instid0(VALU_DEP_2)
	v_cndmask_b32_e64 v9, v11, v9, s10
	s_or_not1_b32 s10, vcc_lo, exec_lo
	s_branch .LBB12_52
.LBB12_59:
	s_or_b32 exec_lo, exec_lo, s27
.LBB12_60:
	s_delay_alu instid0(SALU_CYCLE_1)
	s_or_b32 exec_lo, exec_lo, s21
	ds_bpermute_b32 v3, v3, v9
	v_or_b32_e32 v10, 0x80, v2
	s_wait_dscnt 0x0
	v_cmp_lt_f32_e32 vcc_lo, v9, v3
	v_cndmask_b32_e32 v3, v9, v3, vcc_lo
	s_delay_alu instid0(VALU_DEP_1) | instskip(SKIP_1) | instid1(SALU_CYCLE_1)
	v_cndmask_b32_e64 v3, v9, v3, s1
	s_or_b32 s1, s1, s2
	s_or_b32 s1, s3, s1
	s_delay_alu instid0(SALU_CYCLE_1)
	s_or_b32 s1, s4, s1
	ds_bpermute_b32 v4, v4, v3
	s_or_b32 s1, s5, s1
	s_wait_dscnt 0x0
	v_cmp_lt_f32_e32 vcc_lo, v3, v4
	v_cndmask_b32_e32 v4, v3, v4, vcc_lo
	s_delay_alu instid0(VALU_DEP_1) | instskip(SKIP_4) | instid1(VALU_DEP_1)
	v_cndmask_b32_e64 v3, v3, v4, s2
	ds_bpermute_b32 v4, v5, v3
	s_wait_dscnt 0x0
	v_cmp_lt_f32_e32 vcc_lo, v3, v4
	v_cndmask_b32_e32 v4, v3, v4, vcc_lo
	v_cndmask_b32_e64 v3, v3, v4, s3
	ds_bpermute_b32 v4, v6, v3
	s_wait_dscnt 0x0
	v_cmp_lt_f32_e32 vcc_lo, v3, v4
	v_cndmask_b32_e32 v4, v3, v4, vcc_lo
	s_delay_alu instid0(VALU_DEP_1) | instskip(SKIP_4) | instid1(VALU_DEP_1)
	v_cndmask_b32_e64 v3, v3, v4, s4
	ds_bpermute_b32 v4, v7, v3
	s_wait_dscnt 0x0
	v_cmp_lt_f32_e32 vcc_lo, v3, v4
	v_cndmask_b32_e32 v4, v3, v4, vcc_lo
	v_cndmask_b32_e64 v3, v3, v4, s5
	ds_bpermute_b32 v4, v10, v3
	s_wait_dscnt 0x0
	v_cmp_lt_f32_e32 vcc_lo, v3, v4
	s_and_b32 vcc_lo, s8, vcc_lo
	v_cndmask_b32_e32 v3, v3, v4, vcc_lo
	s_or_b32 vcc_lo, s8, s1
	s_delay_alu instid0(VALU_DEP_1)
	v_cndmask_b32_e32 v3, v9, v3, vcc_lo
	s_and_saveexec_b32 s1, s6
; %bb.61:
	v_lshrrev_b32_e32 v4, 4, v0
	s_delay_alu instid0(VALU_DEP_1)
	v_and_b32_e32 v4, 60, v4
	ds_store_b32 v4, v3 offset:64
; %bb.62:
	s_or_b32 exec_lo, exec_lo, s1
	s_wait_dscnt 0x0
	s_barrier_signal -1
	s_barrier_wait -1
	s_and_saveexec_b32 s3, s7
	s_cbranch_execz .LBB12_64
; %bb.63:
	ds_load_b32 v3, v2 offset:64
	v_and_b32_e32 v4, 15, v1
	s_add_co_i32 s1, s20, 63
	v_or_b32_e32 v2, 32, v2
	s_lshr_b32 s2, s1, 6
	s_delay_alu instid0(VALU_DEP_2) | instskip(SKIP_4) | instid1(VALU_DEP_3)
	v_cmp_ne_u32_e32 vcc_lo, 15, v4
	v_add_nc_u32_e32 v6, 1, v4
	v_cmp_gt_u32_e64 s1, 12, v4
	v_add_co_ci_u32_e64 v5, null, 0, v1, vcc_lo
	v_cmp_gt_u32_e32 vcc_lo, 14, v4
	v_cndmask_b32_e64 v9, 0, 4, s1
	s_delay_alu instid0(VALU_DEP_3)
	v_lshlrev_b32_e32 v5, 2, v5
	v_cndmask_b32_e64 v7, 0, 2, vcc_lo
	s_wait_dscnt 0x0
	ds_bpermute_b32 v5, v5, v3
	v_add_lshl_u32 v7, v7, v1, 2
	v_add_lshl_u32 v1, v9, v1, 2
	s_wait_dscnt 0x0
	v_cmp_lt_f32_e32 vcc_lo, v3, v5
	v_cndmask_b32_e32 v5, v3, v5, vcc_lo
	v_cmp_gt_u32_e32 vcc_lo, s2, v6
	s_delay_alu instid0(VALU_DEP_2) | instskip(SKIP_3) | instid1(VALU_DEP_1)
	v_cndmask_b32_e32 v5, v3, v5, vcc_lo
	ds_bpermute_b32 v6, v7, v5
	s_wait_dscnt 0x0
	v_cmp_lt_f32_e64 s1, v5, v6
	v_dual_cndmask_b32 v6, v5, v6, s1 :: v_dual_add_nc_u32 v7, 2, v4
	s_delay_alu instid0(VALU_DEP_1) | instskip(NEXT) | instid1(VALU_DEP_1)
	v_cmp_gt_u32_e64 s1, s2, v7
	v_dual_cndmask_b32 v5, v5, v6, s1 :: v_dual_add_nc_u32 v6, 4, v4
	v_add_nc_u32_e32 v4, 8, v4
	ds_bpermute_b32 v1, v1, v5
	s_wait_dscnt 0x0
	v_cmp_lt_f32_e64 s1, v5, v1
	s_delay_alu instid0(VALU_DEP_1) | instskip(SKIP_1) | instid1(VALU_DEP_1)
	v_cndmask_b32_e64 v1, v5, v1, s1
	v_cmp_gt_u32_e64 s1, s2, v6
	v_cndmask_b32_e64 v1, v5, v1, s1
	v_cmp_gt_u32_e64 s1, s2, v4
	ds_bpermute_b32 v2, v2, v1
	s_wait_dscnt 0x0
	v_cmp_lt_f32_e64 s2, v1, v2
	s_and_b32 s1, s1, s2
	s_delay_alu instid0(SALU_CYCLE_1) | instskip(NEXT) | instid1(VALU_DEP_1)
	v_cndmask_b32_e64 v1, v1, v2, s1
	v_cndmask_b32_e32 v3, v3, v1, vcc_lo
.LBB12_64:
	s_or_b32 exec_lo, exec_lo, s3
	s_and_saveexec_b32 s1, s9
	s_cbranch_execz .LBB12_68
; %bb.65:
	s_cmp_eq_u64 s[24:25], 0
	s_cbranch_scc1 .LBB12_67
; %bb.66:
	v_dual_mov_b32 v1, 0 :: v_dual_max_num_f32 v2, v3, v3
	global_load_b32 v1, v1, s[24:25]
	s_wait_loadcnt 0x0
	v_max_num_f32_e32 v1, v1, v1
	s_delay_alu instid0(VALU_DEP_1)
	v_min_num_f32_e32 v3, v2, v1
.LBB12_67:
	s_delay_alu instid0(VALU_DEP_1)
	v_div_scale_f32 v1, null, 0x43e00000, 0x43e00000, v3
	v_div_scale_f32 v5, vcc_lo, v3, 0x43e00000, v3
	s_lshl_b64 s[2:3], s[30:31], 2
	v_rcp_f32_e32 v2, v1
	s_add_nc_u64 s[2:3], s[18:19], s[2:3]
	v_nop
	s_delay_alu instid0(TRANS32_DEP_1) | instskip(NEXT) | instid1(VALU_DEP_1)
	v_fma_f32 v4, -v1, v2, 1.0
	v_fmac_f32_e32 v2, v4, v2
	s_delay_alu instid0(VALU_DEP_1) | instskip(NEXT) | instid1(VALU_DEP_1)
	v_mul_f32_e32 v4, v5, v2
	v_fma_f32 v6, -v1, v4, v5
	s_delay_alu instid0(VALU_DEP_1) | instskip(NEXT) | instid1(VALU_DEP_1)
	v_fmac_f32_e32 v4, v6, v2
	v_fma_f32 v1, -v1, v4, v5
	s_delay_alu instid0(VALU_DEP_1) | instskip(SKIP_1) | instid1(VALU_DEP_2)
	v_div_fmas_f32 v1, v1, v2, v4
	v_mov_b32_e32 v2, 0
	v_div_fixup_f32 v1, v1, 0x43e00000, v3
	s_delay_alu instid0(VALU_DEP_1)
	v_max_num_f32_e32 v1, 0x36924925, v1
	ds_store_b32 v2, v1 offset:260
	global_store_b32 v2, v1, s[2:3]
.LBB12_68:
	s_wait_xcnt 0x0
	s_or_b32 exec_lo, exec_lo, s1
	s_wait_storecnt_dscnt 0x0
	s_barrier_signal -1
	s_barrier_wait -1
	s_and_saveexec_b32 s1, s0
	s_cbranch_execz .LBB12_173
; %bb.69:
	v_mov_b32_e32 v1, 0
	s_add_nc_u64 s[0:1], s[16:17], s[28:29]
	s_lshl_b32 s2, s20, 1
	s_mul_i32 s3, s20, 3
	s_mov_b32 s4, 0
	ds_load_b32 v9, v1 offset:260
	s_mov_b32 s5, 0x43e00000
	s_add_co_i32 s6, s20, s20
	s_branch .LBB12_75
.LBB12_70:                              ;   in Loop: Header=BB12_75 Depth=1
	s_or_b32 exec_lo, exec_lo, s16
.LBB12_71:                              ;   in Loop: Header=BB12_75 Depth=1
	s_delay_alu instid0(SALU_CYCLE_1) | instskip(SKIP_3) | instid1(VALU_DEP_3)
	s_or_b32 exec_lo, exec_lo, s10
	v_dual_lshrrev_b32 v10, 24, v12 :: v_dual_lshrrev_b32 v11, 24, v11
	v_dual_lshrrev_b32 v3, 24, v3 :: v_dual_lshlrev_b32 v12, 24, v4
	v_and_b32_e32 v7, 0xff, v7
	v_and_b32_e32 v10, 0x80, v10
	s_delay_alu instid0(VALU_DEP_4) | instskip(NEXT) | instid1(VALU_DEP_3)
	v_and_b32_e32 v11, 0x80, v11
	v_and_or_b32 v3, 0x80, v3, v7
	s_delay_alu instid0(VALU_DEP_3) | instskip(SKIP_1) | instid1(VALU_DEP_4)
	v_and_or_b32 v10, 0xff, v13, v10
	v_and_b32_e32 v13, 0x80000000, v5
	v_and_or_b32 v6, 0xff, v6, v11
	v_lshl_add_u64 v[4:5], v[0:1], 2, s[0:1]
	v_add3_u32 v0, s6, s20, v2
	v_lshlrev_b32_e32 v10, 16, v10
	s_delay_alu instid0(VALU_DEP_4) | instskip(NEXT) | instid1(VALU_DEP_3)
	v_lshlrev_b32_e32 v2, 8, v6
	v_cmp_le_u32_e32 vcc_lo, s11, v0
	s_delay_alu instid0(VALU_DEP_3) | instskip(SKIP_1) | instid1(VALU_DEP_1)
	v_or3_b32 v6, v13, v12, v10
	s_or_not1_b32 s10, vcc_lo, exec_lo
	v_or3_b32 v2, v6, v2, v3
	global_store_b32 v[4:5], v2, off
.LBB12_72:                              ;   in Loop: Header=BB12_75 Depth=1
	s_wait_xcnt 0x0
	s_or_b32 exec_lo, exec_lo, s9
	s_delay_alu instid0(SALU_CYCLE_1)
	s_or_not1_b32 s9, s10, exec_lo
.LBB12_73:                              ;   in Loop: Header=BB12_75 Depth=1
	s_or_b32 exec_lo, exec_lo, s8
	s_delay_alu instid0(SALU_CYCLE_1)
	s_or_not1_b32 s8, s9, exec_lo
.LBB12_74:                              ;   in Loop: Header=BB12_75 Depth=1
	s_or_b32 exec_lo, exec_lo, s7
	s_delay_alu instid0(SALU_CYCLE_1) | instskip(NEXT) | instid1(SALU_CYCLE_1)
	s_and_b32 s7, exec_lo, s8
	s_or_b32 s4, s7, s4
	s_delay_alu instid0(SALU_CYCLE_1)
	s_and_not1_b32 exec_lo, exec_lo, s4
	s_cbranch_execz .LBB12_173
.LBB12_75:                              ; =>This Inner Loop Header: Depth=1
	s_clause 0x2
	global_load_b64 v[4:5], v0, s[12:13] scale_offset
	global_load_b64 v[6:7], v0, s[14:15] scale_offset
	;; [unrolled: 1-line block ×3, first 2 shown]
	s_mov_b32 s7, exec_lo
	s_wait_loadcnt 0x1
	v_dual_lshlrev_b32 v10, 16, v4 :: v_dual_lshlrev_b32 v11, 16, v6
	s_wait_loadcnt 0x0
	s_delay_alu instid0(VALU_DEP_1) | instskip(NEXT) | instid1(VALU_DEP_1)
	v_dual_add_f32 v12, v10, v11 :: v_dual_lshlrev_b32 v13, 16, v2
	v_mul_f32_e32 v10, v8, v12
	s_delay_alu instid0(VALU_DEP_1) | instskip(SKIP_1) | instid1(VALU_DEP_2)
	v_bfe_u32 v11, v10, 16, 1
	v_cmp_o_f32_e32 vcc_lo, v10, v10
	v_add3_u32 v11, v10, v11, 0x7fff
	s_delay_alu instid0(VALU_DEP_1) | instskip(NEXT) | instid1(VALU_DEP_1)
	v_and_b32_e32 v11, 0xffff0000, v11
	v_cndmask_b32_e32 v10, 0x7fc00000, v11, vcc_lo
	s_delay_alu instid0(VALU_DEP_1) | instskip(NEXT) | instid1(VALU_DEP_1)
	v_mul_f32_e32 v10, v10, v13
	v_bfe_u32 v11, v10, 16, 1
	v_cmp_o_f32_e32 vcc_lo, v10, v10
	s_delay_alu instid0(VALU_DEP_2) | instskip(NEXT) | instid1(VALU_DEP_1)
	v_add3_u32 v11, v10, v11, 0x7fff
	v_and_b32_e32 v11, 0xffff0000, v11
	s_delay_alu instid0(VALU_DEP_1)
	v_cndmask_b32_e32 v13, 0x7fc00000, v11, vcc_lo
	v_and_b32_e32 v11, 0xffff0000, v4
	v_alignbit_b32 v4, v5, v4, 16
	v_and_b32_e32 v5, 0xffff0000, v5
	s_wait_dscnt 0x0
	v_div_scale_f32 v14, null, v9, v9, v13
	v_div_scale_f32 v16, vcc_lo, v13, v9, v13
	v_and_b32_e32 v4, 0xffff0000, v4
	s_delay_alu instid0(VALU_DEP_3) | instskip(SKIP_1) | instid1(TRANS32_DEP_1)
	v_rcp_f32_e32 v15, v14
	v_nop
	v_fma_f32 v10, -v14, v15, 1.0
	s_delay_alu instid0(VALU_DEP_1) | instskip(SKIP_3) | instid1(VALU_DEP_3)
	v_fmac_f32_e32 v15, v10, v15
	v_alignbit_b32 v10, v7, v6, 16
	v_and_b32_e32 v6, 0xffff0000, v6
	v_and_b32_e32 v7, 0xffff0000, v7
	;; [unrolled: 1-line block ×3, first 2 shown]
	s_delay_alu instid0(VALU_DEP_3) | instskip(NEXT) | instid1(VALU_DEP_2)
	v_dual_add_f32 v10, v11, v6 :: v_dual_mul_f32 v17, v16, v15
	v_dual_add_f32 v7, v5, v7 :: v_dual_add_f32 v11, v4, v18
	v_bfe_u32 v4, v12, 16, 1
	s_delay_alu instid0(VALU_DEP_3) | instskip(NEXT) | instid1(VALU_DEP_4)
	v_fma_f32 v6, -v14, v17, v16
	v_bfe_u32 v5, v10, 16, 1
	s_delay_alu instid0(VALU_DEP_4) | instskip(NEXT) | instid1(VALU_DEP_4)
	v_bfe_u32 v18, v11, 16, 1
	v_add3_u32 v4, v12, v4, 0x7fff
	s_delay_alu instid0(VALU_DEP_4) | instskip(NEXT) | instid1(VALU_DEP_4)
	v_fmac_f32_e32 v17, v6, v15
	v_add3_u32 v5, v10, v5, 0x7fff
	v_bfe_u32 v6, v7, 16, 1
	s_delay_alu instid0(VALU_DEP_3) | instskip(NEXT) | instid1(VALU_DEP_3)
	v_dual_lshrrev_b32 v4, 16, v4 :: v_dual_fma_f32 v14, -v14, v17, v16
	v_and_b32_e32 v5, 0xffff0000, v5
	s_delay_alu instid0(VALU_DEP_3) | instskip(SKIP_1) | instid1(VALU_DEP_4)
	v_add3_u32 v6, v7, v6, 0x7fff
	v_add3_u32 v16, v11, v18, 0x7fff
	v_div_fmas_f32 v14, v14, v15, v17
	v_cmp_o_f32_e32 vcc_lo, v10, v10
	s_delay_alu instid0(VALU_DEP_4) | instskip(NEXT) | instid1(VALU_DEP_4)
	v_and_b32_e32 v6, 0xffff0000, v6
	v_lshrrev_b32_e32 v15, 16, v16
	s_delay_alu instid0(VALU_DEP_4)
	v_div_fixup_f32 v13, v14, v9, v13
	v_cndmask_b32_e32 v5, 0x7fc00000, v5, vcc_lo
	v_cmp_o_f32_e32 vcc_lo, v12, v12
	v_cndmask_b32_e32 v12, 0x7fc0, v4, vcc_lo
	v_cmp_o_f32_e32 vcc_lo, v7, v7
	v_minmax_num_f32 v4, v13, s5, 0xc3e00000
	s_delay_alu instid0(VALU_DEP_3) | instskip(SKIP_2) | instid1(VALU_DEP_4)
	v_or_b32_e32 v14, v12, v5
	v_cndmask_b32_e32 v6, 0x7fc00000, v6, vcc_lo
	v_cmp_o_f32_e32 vcc_lo, v11, v11
	v_and_b32_e32 v12, 0x7fffffff, v4
	v_mov_b32_e32 v5, 0x7f
	v_or3_b32 v14, v14, 0, 0
	v_cndmask_b32_e32 v13, 0x7fc0, v15, vcc_lo
	s_delay_alu instid0(VALU_DEP_1)
	v_or3_b32 v15, 0, v13, v6
	v_mov_b32_e32 v6, 0x7f
	global_store_b64 v0, v[14:15], s[14:15] scale_offset
	s_wait_xcnt 0x0
	v_cmpx_gt_u32_e32 0x43f00000, v12
	s_cbranch_execz .LBB12_81
; %bb.76:                               ;   in Loop: Header=BB12_75 Depth=1
	s_mov_b32 s8, exec_lo
                                        ; implicit-def: $vgpr6
	v_cmpx_lt_u32_e32 0x3c7fffff, v12
	s_xor_b32 s8, exec_lo, s8
; %bb.77:                               ;   in Loop: Header=BB12_75 Depth=1
	v_bfe_u32 v6, v4, 20, 1
	s_delay_alu instid0(VALU_DEP_1) | instskip(NEXT) | instid1(VALU_DEP_1)
	v_add3_u32 v6, v4, v6, 0x407ffff
	v_lshrrev_b32_e32 v6, 20, v6
; %bb.78:                               ;   in Loop: Header=BB12_75 Depth=1
	s_and_not1_saveexec_b32 s8, s8
; %bb.79:                               ;   in Loop: Header=BB12_75 Depth=1
	v_add_f32_e64 v6, 0x46800000, |v4|
; %bb.80:                               ;   in Loop: Header=BB12_75 Depth=1
	s_or_b32 exec_lo, exec_lo, s8
.LBB12_81:                              ;   in Loop: Header=BB12_75 Depth=1
	s_delay_alu instid0(SALU_CYCLE_1) | instskip(SKIP_3) | instid1(VALU_DEP_2)
	s_or_b32 exec_lo, exec_lo, s7
	v_mul_f32_e32 v10, v8, v10
	v_and_b32_e32 v13, 0xffff0000, v2
	s_mov_b32 s7, exec_lo
	v_bfe_u32 v12, v10, 16, 1
	v_cmp_o_f32_e32 vcc_lo, v10, v10
	s_delay_alu instid0(VALU_DEP_2) | instskip(NEXT) | instid1(VALU_DEP_1)
	v_add3_u32 v12, v10, v12, 0x7fff
	v_and_b32_e32 v12, 0xffff0000, v12
	s_delay_alu instid0(VALU_DEP_1) | instskip(NEXT) | instid1(VALU_DEP_1)
	v_cndmask_b32_e32 v10, 0x7fc00000, v12, vcc_lo
	v_mul_f32_e32 v10, v10, v13
	s_delay_alu instid0(VALU_DEP_1) | instskip(SKIP_1) | instid1(VALU_DEP_2)
	v_bfe_u32 v12, v10, 16, 1
	v_cmp_o_f32_e32 vcc_lo, v10, v10
	v_add3_u32 v12, v10, v12, 0x7fff
	s_delay_alu instid0(VALU_DEP_1) | instskip(NEXT) | instid1(VALU_DEP_1)
	v_and_b32_e32 v12, 0xffff0000, v12
	v_cndmask_b32_e32 v10, 0x7fc00000, v12, vcc_lo
	s_delay_alu instid0(VALU_DEP_1) | instskip(NEXT) | instid1(VALU_DEP_1)
	v_div_scale_f32 v12, null, v9, v9, v10
	v_rcp_f32_e32 v13, v12
	v_nop
	s_delay_alu instid0(TRANS32_DEP_1) | instskip(NEXT) | instid1(VALU_DEP_1)
	v_fma_f32 v14, -v12, v13, 1.0
	v_fmac_f32_e32 v13, v14, v13
	v_div_scale_f32 v14, vcc_lo, v10, v9, v10
	s_delay_alu instid0(VALU_DEP_1) | instskip(NEXT) | instid1(VALU_DEP_1)
	v_mul_f32_e32 v15, v14, v13
	v_fma_f32 v16, -v12, v15, v14
	s_delay_alu instid0(VALU_DEP_1) | instskip(NEXT) | instid1(VALU_DEP_1)
	v_fmac_f32_e32 v15, v16, v13
	v_fma_f32 v12, -v12, v15, v14
	s_delay_alu instid0(VALU_DEP_1) | instskip(NEXT) | instid1(VALU_DEP_1)
	v_div_fmas_f32 v12, v12, v13, v15
	v_div_fixup_f32 v10, v12, v9, v10
	s_delay_alu instid0(VALU_DEP_1) | instskip(NEXT) | instid1(VALU_DEP_1)
	v_minmax_num_f32 v10, v10, s5, 0xc3e00000
	v_and_b32_e32 v12, 0x7fffffff, v10
	s_delay_alu instid0(VALU_DEP_1)
	v_cmpx_gt_u32_e32 0x43f00000, v12
	s_cbranch_execz .LBB12_87
; %bb.82:                               ;   in Loop: Header=BB12_75 Depth=1
	s_mov_b32 s8, exec_lo
                                        ; implicit-def: $vgpr5
	v_cmpx_lt_u32_e32 0x3c7fffff, v12
	s_xor_b32 s8, exec_lo, s8
; %bb.83:                               ;   in Loop: Header=BB12_75 Depth=1
	v_bfe_u32 v5, v10, 20, 1
	s_delay_alu instid0(VALU_DEP_1) | instskip(NEXT) | instid1(VALU_DEP_1)
	v_add3_u32 v5, v10, v5, 0x407ffff
	v_lshrrev_b32_e32 v5, 20, v5
; %bb.84:                               ;   in Loop: Header=BB12_75 Depth=1
	s_and_not1_saveexec_b32 s8, s8
; %bb.85:                               ;   in Loop: Header=BB12_75 Depth=1
	v_add_f32_e64 v5, 0x46800000, |v10|
; %bb.86:                               ;   in Loop: Header=BB12_75 Depth=1
	s_or_b32 exec_lo, exec_lo, s8
.LBB12_87:                              ;   in Loop: Header=BB12_75 Depth=1
	s_delay_alu instid0(SALU_CYCLE_1) | instskip(SKIP_3) | instid1(VALU_DEP_2)
	s_or_b32 exec_lo, exec_lo, s7
	v_mul_f32_e32 v11, v8, v11
	v_alignbit_b32 v2, v3, v2, 16
	s_mov_b32 s7, exec_lo
	v_bfe_u32 v12, v11, 16, 1
	v_cmp_o_f32_e32 vcc_lo, v11, v11
	s_delay_alu instid0(VALU_DEP_3) | instskip(NEXT) | instid1(VALU_DEP_3)
	v_and_b32_e32 v2, 0xffff0000, v2
	v_add3_u32 v12, v11, v12, 0x7fff
	s_delay_alu instid0(VALU_DEP_1) | instskip(NEXT) | instid1(VALU_DEP_1)
	v_and_b32_e32 v12, 0xffff0000, v12
	v_cndmask_b32_e32 v11, 0x7fc00000, v12, vcc_lo
	s_delay_alu instid0(VALU_DEP_1) | instskip(NEXT) | instid1(VALU_DEP_1)
	v_mul_f32_e32 v2, v11, v2
	v_bfe_u32 v11, v2, 16, 1
	v_cmp_o_f32_e32 vcc_lo, v2, v2
	s_delay_alu instid0(VALU_DEP_2) | instskip(NEXT) | instid1(VALU_DEP_1)
	v_add3_u32 v11, v2, v11, 0x7fff
	v_and_b32_e32 v11, 0xffff0000, v11
	s_delay_alu instid0(VALU_DEP_1) | instskip(NEXT) | instid1(VALU_DEP_1)
	v_cndmask_b32_e32 v2, 0x7fc00000, v11, vcc_lo
	v_div_scale_f32 v11, null, v9, v9, v2
	v_div_scale_f32 v14, vcc_lo, v2, v9, v2
	s_delay_alu instid0(VALU_DEP_2) | instskip(SKIP_1) | instid1(TRANS32_DEP_1)
	v_rcp_f32_e32 v12, v11
	v_nop
	v_fma_f32 v13, -v11, v12, 1.0
	s_delay_alu instid0(VALU_DEP_1) | instskip(NEXT) | instid1(VALU_DEP_1)
	v_fmac_f32_e32 v12, v13, v12
	v_mul_f32_e32 v13, v14, v12
	s_delay_alu instid0(VALU_DEP_1) | instskip(NEXT) | instid1(VALU_DEP_1)
	v_fma_f32 v15, -v11, v13, v14
	v_fmac_f32_e32 v13, v15, v12
	s_delay_alu instid0(VALU_DEP_1) | instskip(NEXT) | instid1(VALU_DEP_1)
	v_fma_f32 v11, -v11, v13, v14
	v_div_fmas_f32 v11, v11, v12, v13
	v_mov_b32_e32 v12, 0x7f
	s_delay_alu instid0(VALU_DEP_2) | instskip(NEXT) | instid1(VALU_DEP_1)
	v_div_fixup_f32 v2, v11, v9, v2
	v_minmax_num_f32 v11, v2, s5, 0xc3e00000
	v_mov_b32_e32 v2, 0x7f
	s_delay_alu instid0(VALU_DEP_2) | instskip(NEXT) | instid1(VALU_DEP_1)
	v_and_b32_e32 v13, 0x7fffffff, v11
	v_cmpx_gt_u32_e32 0x43f00000, v13
	s_cbranch_execz .LBB12_93
; %bb.88:                               ;   in Loop: Header=BB12_75 Depth=1
	s_mov_b32 s8, exec_lo
                                        ; implicit-def: $vgpr12
	v_cmpx_lt_u32_e32 0x3c7fffff, v13
	s_xor_b32 s8, exec_lo, s8
; %bb.89:                               ;   in Loop: Header=BB12_75 Depth=1
	v_bfe_u32 v12, v11, 20, 1
	s_delay_alu instid0(VALU_DEP_1) | instskip(NEXT) | instid1(VALU_DEP_1)
	v_add3_u32 v12, v11, v12, 0x407ffff
	v_lshrrev_b32_e32 v12, 20, v12
; %bb.90:                               ;   in Loop: Header=BB12_75 Depth=1
	s_and_not1_saveexec_b32 s8, s8
; %bb.91:                               ;   in Loop: Header=BB12_75 Depth=1
	v_add_f32_e64 v12, 0x46800000, |v11|
; %bb.92:                               ;   in Loop: Header=BB12_75 Depth=1
	s_or_b32 exec_lo, exec_lo, s8
.LBB12_93:                              ;   in Loop: Header=BB12_75 Depth=1
	s_delay_alu instid0(SALU_CYCLE_1) | instskip(SKIP_3) | instid1(VALU_DEP_2)
	s_or_b32 exec_lo, exec_lo, s7
	v_mul_f32_e32 v7, v8, v7
	v_and_b32_e32 v3, 0xffff0000, v3
	s_mov_b32 s7, exec_lo
	v_bfe_u32 v13, v7, 16, 1
	v_cmp_o_f32_e32 vcc_lo, v7, v7
	s_delay_alu instid0(VALU_DEP_2) | instskip(NEXT) | instid1(VALU_DEP_1)
	v_add3_u32 v13, v7, v13, 0x7fff
	v_and_b32_e32 v13, 0xffff0000, v13
	s_delay_alu instid0(VALU_DEP_1) | instskip(NEXT) | instid1(VALU_DEP_1)
	v_cndmask_b32_e32 v7, 0x7fc00000, v13, vcc_lo
	v_mul_f32_e32 v3, v7, v3
	s_delay_alu instid0(VALU_DEP_1) | instskip(SKIP_1) | instid1(VALU_DEP_2)
	v_bfe_u32 v7, v3, 16, 1
	v_cmp_o_f32_e32 vcc_lo, v3, v3
	v_add3_u32 v7, v3, v7, 0x7fff
	s_delay_alu instid0(VALU_DEP_1) | instskip(NEXT) | instid1(VALU_DEP_1)
	v_and_b32_e32 v7, 0xffff0000, v7
	v_cndmask_b32_e32 v3, 0x7fc00000, v7, vcc_lo
	s_delay_alu instid0(VALU_DEP_1) | instskip(NEXT) | instid1(VALU_DEP_1)
	v_div_scale_f32 v7, null, v9, v9, v3
	v_rcp_f32_e32 v13, v7
	v_nop
	s_delay_alu instid0(TRANS32_DEP_1) | instskip(NEXT) | instid1(VALU_DEP_1)
	v_fma_f32 v14, -v7, v13, 1.0
	v_fmac_f32_e32 v13, v14, v13
	v_div_scale_f32 v14, vcc_lo, v3, v9, v3
	s_delay_alu instid0(VALU_DEP_1) | instskip(NEXT) | instid1(VALU_DEP_1)
	v_mul_f32_e32 v15, v14, v13
	v_fma_f32 v16, -v7, v15, v14
	s_delay_alu instid0(VALU_DEP_1) | instskip(NEXT) | instid1(VALU_DEP_1)
	v_fmac_f32_e32 v15, v16, v13
	v_fma_f32 v7, -v7, v15, v14
	s_delay_alu instid0(VALU_DEP_1) | instskip(NEXT) | instid1(VALU_DEP_1)
	v_div_fmas_f32 v7, v7, v13, v15
	v_div_fixup_f32 v3, v7, v9, v3
	s_delay_alu instid0(VALU_DEP_1) | instskip(NEXT) | instid1(VALU_DEP_1)
	v_minmax_num_f32 v3, v3, s5, 0xc3e00000
	v_and_b32_e32 v7, 0x7fffffff, v3
	s_delay_alu instid0(VALU_DEP_1)
	v_cmpx_gt_u32_e32 0x43f00000, v7
	s_cbranch_execz .LBB12_99
; %bb.94:                               ;   in Loop: Header=BB12_75 Depth=1
	s_mov_b32 s8, exec_lo
                                        ; implicit-def: $vgpr2
	v_cmpx_lt_u32_e32 0x3c7fffff, v7
	s_xor_b32 s8, exec_lo, s8
; %bb.95:                               ;   in Loop: Header=BB12_75 Depth=1
	v_bfe_u32 v2, v3, 20, 1
	s_delay_alu instid0(VALU_DEP_1) | instskip(NEXT) | instid1(VALU_DEP_1)
	v_add3_u32 v2, v3, v2, 0x407ffff
	v_lshrrev_b32_e32 v2, 20, v2
; %bb.96:                               ;   in Loop: Header=BB12_75 Depth=1
	s_and_not1_saveexec_b32 s8, s8
; %bb.97:                               ;   in Loop: Header=BB12_75 Depth=1
	v_add_f32_e64 v2, 0x46800000, |v3|
; %bb.98:                               ;   in Loop: Header=BB12_75 Depth=1
	s_or_b32 exec_lo, exec_lo, s8
.LBB12_99:                              ;   in Loop: Header=BB12_75 Depth=1
	s_delay_alu instid0(SALU_CYCLE_1) | instskip(SKIP_1) | instid1(VALU_DEP_2)
	s_or_b32 exec_lo, exec_lo, s7
	v_dual_lshrrev_b32 v7, 24, v11 :: v_dual_lshrrev_b32 v10, 24, v10
	v_dual_lshrrev_b32 v4, 24, v4 :: v_dual_lshlrev_b32 v2, 24, v2
	v_and_b32_e32 v3, 0x80000000, v3
	s_delay_alu instid0(VALU_DEP_3) | instskip(NEXT) | instid1(VALU_DEP_4)
	v_and_b32_e32 v7, 0x80, v7
	v_and_b32_e32 v10, 0x80, v10
	;; [unrolled: 1-line block ×3, first 2 shown]
	s_mov_b32 s8, -1
	s_mov_b32 s7, exec_lo
	v_and_or_b32 v7, 0xff, v12, v7
	v_and_or_b32 v5, 0xff, v5, v10
	;; [unrolled: 1-line block ×3, first 2 shown]
	s_delay_alu instid0(VALU_DEP_2) | instskip(SKIP_1) | instid1(VALU_DEP_2)
	v_dual_lshlrev_b32 v7, 16, v7 :: v_dual_lshlrev_b32 v10, 8, v5
	v_lshl_add_u64 v[4:5], v[0:1], 2, s[0:1]
	v_or3_b32 v3, v3, v2, v7
	v_add_nc_u32_e32 v2, s20, v0
	s_delay_alu instid0(VALU_DEP_2)
	v_or3_b32 v3, v3, v10, v6
	global_store_b32 v[4:5], v3, off
	s_wait_xcnt 0x0
	v_cmpx_gt_u32_e64 s11, v2
	s_cbranch_execz .LBB12_74
; %bb.100:                              ;   in Loop: Header=BB12_75 Depth=1
	s_clause 0x2
	global_load_b64 v[6:7], v2, s[12:13] scale_offset
	global_load_b64 v[10:11], v2, s[14:15] scale_offset
	;; [unrolled: 1-line block ×3, first 2 shown]
	s_mov_b32 s8, exec_lo
	s_wait_loadcnt 0x2
	v_lshlrev_b32_e32 v3, 16, v6
	s_wait_loadcnt 0x0
	v_dual_lshlrev_b32 v12, 16, v10 :: v_dual_lshlrev_b32 v14, 16, v4
	v_and_b32_e32 v16, 0xffff0000, v6
	v_alignbit_b32 v6, v7, v6, 16
	v_and_b32_e32 v7, 0xffff0000, v7
	s_delay_alu instid0(VALU_DEP_4) | instskip(SKIP_1) | instid1(VALU_DEP_4)
	v_add_f32_e32 v3, v3, v12
	v_and_b32_e32 v18, 0xffff0000, v11
	v_and_b32_e32 v6, 0xffff0000, v6
	s_delay_alu instid0(VALU_DEP_3) | instskip(NEXT) | instid1(VALU_DEP_1)
	v_mul_f32_e32 v12, v8, v3
	v_bfe_u32 v13, v12, 16, 1
	v_cmp_o_f32_e32 vcc_lo, v12, v12
	s_delay_alu instid0(VALU_DEP_2) | instskip(NEXT) | instid1(VALU_DEP_1)
	v_add3_u32 v13, v12, v13, 0x7fff
	v_and_b32_e32 v13, 0xffff0000, v13
	s_delay_alu instid0(VALU_DEP_1) | instskip(NEXT) | instid1(VALU_DEP_1)
	v_cndmask_b32_e32 v12, 0x7fc00000, v13, vcc_lo
	v_mul_f32_e32 v12, v12, v14
	s_delay_alu instid0(VALU_DEP_1) | instskip(SKIP_1) | instid1(VALU_DEP_2)
	v_bfe_u32 v13, v12, 16, 1
	v_cmp_o_f32_e32 vcc_lo, v12, v12
	v_add3_u32 v13, v12, v13, 0x7fff
	s_delay_alu instid0(VALU_DEP_1) | instskip(NEXT) | instid1(VALU_DEP_1)
	v_and_b32_e32 v13, 0xffff0000, v13
	v_cndmask_b32_e32 v13, 0x7fc00000, v13, vcc_lo
	s_delay_alu instid0(VALU_DEP_1) | instskip(SKIP_1) | instid1(VALU_DEP_2)
	v_div_scale_f32 v14, null, v9, v9, v13
	v_div_scale_f32 v17, vcc_lo, v13, v9, v13
	v_rcp_f32_e32 v15, v14
	v_nop
	s_delay_alu instid0(TRANS32_DEP_1) | instskip(NEXT) | instid1(VALU_DEP_1)
	v_fma_f32 v12, -v14, v15, 1.0
	v_fmac_f32_e32 v15, v12, v15
	v_alignbit_b32 v12, v11, v10, 16
	v_and_b32_e32 v10, 0xffff0000, v10
	s_delay_alu instid0(VALU_DEP_2) | instskip(NEXT) | instid1(VALU_DEP_1)
	v_and_b32_e32 v12, 0xffff0000, v12
	v_dual_add_f32 v12, v6, v12 :: v_dual_mul_f32 v19, v17, v15
	s_delay_alu instid0(VALU_DEP_3) | instskip(SKIP_2) | instid1(VALU_DEP_4)
	v_add_f32_e32 v11, v16, v10
	v_bfe_u32 v6, v3, 16, 1
	v_add_f32_e32 v10, v7, v18
	v_bfe_u32 v18, v12, 16, 1
	v_fma_f32 v16, -v14, v19, v17
	v_bfe_u32 v7, v11, 16, 1
	v_add3_u32 v6, v3, v6, 0x7fff
	s_delay_alu instid0(VALU_DEP_3) | instskip(NEXT) | instid1(VALU_DEP_3)
	v_fmac_f32_e32 v19, v16, v15
	v_add3_u32 v7, v11, v7, 0x7fff
	s_delay_alu instid0(VALU_DEP_3) | instskip(SKIP_1) | instid1(VALU_DEP_4)
	v_lshrrev_b32_e32 v6, 16, v6
	v_bfe_u32 v16, v10, 16, 1
	v_fma_f32 v14, -v14, v19, v17
	s_delay_alu instid0(VALU_DEP_4) | instskip(SKIP_1) | instid1(VALU_DEP_4)
	v_and_b32_e32 v7, 0xffff0000, v7
	v_add3_u32 v17, v12, v18, 0x7fff
	v_add3_u32 v16, v10, v16, 0x7fff
	s_delay_alu instid0(VALU_DEP_4) | instskip(SKIP_1) | instid1(VALU_DEP_3)
	v_div_fmas_f32 v14, v14, v15, v19
	v_cmp_o_f32_e32 vcc_lo, v11, v11
	v_and_b32_e32 v15, 0xffff0000, v16
	v_lshrrev_b32_e32 v16, 16, v17
	s_delay_alu instid0(VALU_DEP_4) | instskip(SKIP_2) | instid1(VALU_DEP_3)
	v_div_fixup_f32 v13, v14, v9, v13
	v_cndmask_b32_e32 v7, 0x7fc00000, v7, vcc_lo
	v_cmp_o_f32_e32 vcc_lo, v3, v3
	v_minmax_num_f32 v3, v13, s5, 0xc3e00000
	v_cndmask_b32_e32 v6, 0x7fc0, v6, vcc_lo
	v_cmp_o_f32_e32 vcc_lo, v10, v10
	s_delay_alu instid0(VALU_DEP_3) | instskip(NEXT) | instid1(VALU_DEP_3)
	v_and_b32_e32 v13, 0x7fffffff, v3
	v_or_b32_e32 v7, v6, v7
	v_cndmask_b32_e32 v14, 0x7fc00000, v15, vcc_lo
	v_cmp_o_f32_e32 vcc_lo, v12, v12
	v_mov_b32_e32 v6, 0x7f
	v_cndmask_b32_e32 v15, 0x7fc0, v16, vcc_lo
	s_delay_alu instid0(VALU_DEP_1)
	v_or3_b32 v15, 0, v15, v14
	v_or3_b32 v14, v7, 0, 0
	v_mov_b32_e32 v7, 0x7f
	global_store_b64 v2, v[14:15], s[14:15] scale_offset
	s_wait_xcnt 0x0
	v_cmpx_gt_u32_e32 0x43f00000, v13
	s_cbranch_execz .LBB12_106
; %bb.101:                              ;   in Loop: Header=BB12_75 Depth=1
	s_mov_b32 s9, exec_lo
                                        ; implicit-def: $vgpr7
	v_cmpx_lt_u32_e32 0x3c7fffff, v13
	s_xor_b32 s9, exec_lo, s9
; %bb.102:                              ;   in Loop: Header=BB12_75 Depth=1
	v_bfe_u32 v7, v3, 20, 1
	s_delay_alu instid0(VALU_DEP_1) | instskip(NEXT) | instid1(VALU_DEP_1)
	v_add3_u32 v7, v3, v7, 0x407ffff
	v_lshrrev_b32_e32 v7, 20, v7
; %bb.103:                              ;   in Loop: Header=BB12_75 Depth=1
	s_and_not1_saveexec_b32 s9, s9
; %bb.104:                              ;   in Loop: Header=BB12_75 Depth=1
	v_add_f32_e64 v7, 0x46800000, |v3|
; %bb.105:                              ;   in Loop: Header=BB12_75 Depth=1
	s_or_b32 exec_lo, exec_lo, s9
.LBB12_106:                             ;   in Loop: Header=BB12_75 Depth=1
	s_delay_alu instid0(SALU_CYCLE_1) | instskip(SKIP_3) | instid1(VALU_DEP_2)
	s_or_b32 exec_lo, exec_lo, s8
	v_mul_f32_e32 v11, v8, v11
	v_and_b32_e32 v14, 0xffff0000, v4
	s_mov_b32 s8, exec_lo
	v_bfe_u32 v13, v11, 16, 1
	v_cmp_o_f32_e32 vcc_lo, v11, v11
	s_delay_alu instid0(VALU_DEP_2) | instskip(NEXT) | instid1(VALU_DEP_1)
	v_add3_u32 v13, v11, v13, 0x7fff
	v_and_b32_e32 v13, 0xffff0000, v13
	s_delay_alu instid0(VALU_DEP_1) | instskip(NEXT) | instid1(VALU_DEP_1)
	v_cndmask_b32_e32 v11, 0x7fc00000, v13, vcc_lo
	v_mul_f32_e32 v11, v11, v14
	s_delay_alu instid0(VALU_DEP_1) | instskip(SKIP_1) | instid1(VALU_DEP_2)
	v_bfe_u32 v13, v11, 16, 1
	v_cmp_o_f32_e32 vcc_lo, v11, v11
	v_add3_u32 v13, v11, v13, 0x7fff
	s_delay_alu instid0(VALU_DEP_1) | instskip(NEXT) | instid1(VALU_DEP_1)
	v_and_b32_e32 v13, 0xffff0000, v13
	v_cndmask_b32_e32 v11, 0x7fc00000, v13, vcc_lo
	s_delay_alu instid0(VALU_DEP_1) | instskip(NEXT) | instid1(VALU_DEP_1)
	v_div_scale_f32 v13, null, v9, v9, v11
	v_rcp_f32_e32 v14, v13
	v_nop
	s_delay_alu instid0(TRANS32_DEP_1) | instskip(NEXT) | instid1(VALU_DEP_1)
	v_fma_f32 v15, -v13, v14, 1.0
	v_fmac_f32_e32 v14, v15, v14
	v_div_scale_f32 v15, vcc_lo, v11, v9, v11
	s_delay_alu instid0(VALU_DEP_1) | instskip(NEXT) | instid1(VALU_DEP_1)
	v_mul_f32_e32 v16, v15, v14
	v_fma_f32 v17, -v13, v16, v15
	s_delay_alu instid0(VALU_DEP_1) | instskip(NEXT) | instid1(VALU_DEP_1)
	v_fmac_f32_e32 v16, v17, v14
	v_fma_f32 v13, -v13, v16, v15
	s_delay_alu instid0(VALU_DEP_1) | instskip(NEXT) | instid1(VALU_DEP_1)
	v_div_fmas_f32 v13, v13, v14, v16
	v_div_fixup_f32 v11, v13, v9, v11
	s_delay_alu instid0(VALU_DEP_1) | instskip(NEXT) | instid1(VALU_DEP_1)
	v_minmax_num_f32 v11, v11, s5, 0xc3e00000
	v_and_b32_e32 v13, 0x7fffffff, v11
	s_delay_alu instid0(VALU_DEP_1)
	v_cmpx_gt_u32_e32 0x43f00000, v13
	s_cbranch_execz .LBB12_112
; %bb.107:                              ;   in Loop: Header=BB12_75 Depth=1
	s_mov_b32 s9, exec_lo
                                        ; implicit-def: $vgpr6
	v_cmpx_lt_u32_e32 0x3c7fffff, v13
	s_xor_b32 s9, exec_lo, s9
; %bb.108:                              ;   in Loop: Header=BB12_75 Depth=1
	v_bfe_u32 v6, v11, 20, 1
	s_delay_alu instid0(VALU_DEP_1) | instskip(NEXT) | instid1(VALU_DEP_1)
	v_add3_u32 v6, v11, v6, 0x407ffff
	v_lshrrev_b32_e32 v6, 20, v6
; %bb.109:                              ;   in Loop: Header=BB12_75 Depth=1
	s_and_not1_saveexec_b32 s9, s9
; %bb.110:                              ;   in Loop: Header=BB12_75 Depth=1
	v_add_f32_e64 v6, 0x46800000, |v11|
; %bb.111:                              ;   in Loop: Header=BB12_75 Depth=1
	s_or_b32 exec_lo, exec_lo, s9
.LBB12_112:                             ;   in Loop: Header=BB12_75 Depth=1
	s_delay_alu instid0(SALU_CYCLE_1) | instskip(SKIP_3) | instid1(VALU_DEP_2)
	s_or_b32 exec_lo, exec_lo, s8
	v_mul_f32_e32 v12, v8, v12
	v_alignbit_b32 v4, v5, v4, 16
	s_mov_b32 s8, exec_lo
	v_bfe_u32 v13, v12, 16, 1
	v_cmp_o_f32_e32 vcc_lo, v12, v12
	s_delay_alu instid0(VALU_DEP_3) | instskip(NEXT) | instid1(VALU_DEP_3)
	v_and_b32_e32 v4, 0xffff0000, v4
	v_add3_u32 v13, v12, v13, 0x7fff
	s_delay_alu instid0(VALU_DEP_1) | instskip(NEXT) | instid1(VALU_DEP_1)
	v_and_b32_e32 v13, 0xffff0000, v13
	v_cndmask_b32_e32 v12, 0x7fc00000, v13, vcc_lo
	s_delay_alu instid0(VALU_DEP_1) | instskip(NEXT) | instid1(VALU_DEP_1)
	v_mul_f32_e32 v4, v12, v4
	v_bfe_u32 v12, v4, 16, 1
	v_cmp_o_f32_e32 vcc_lo, v4, v4
	s_delay_alu instid0(VALU_DEP_2) | instskip(NEXT) | instid1(VALU_DEP_1)
	v_add3_u32 v12, v4, v12, 0x7fff
	v_and_b32_e32 v12, 0xffff0000, v12
	s_delay_alu instid0(VALU_DEP_1) | instskip(NEXT) | instid1(VALU_DEP_1)
	v_cndmask_b32_e32 v4, 0x7fc00000, v12, vcc_lo
	v_div_scale_f32 v12, null, v9, v9, v4
	v_div_scale_f32 v15, vcc_lo, v4, v9, v4
	s_delay_alu instid0(VALU_DEP_2) | instskip(SKIP_1) | instid1(TRANS32_DEP_1)
	v_rcp_f32_e32 v13, v12
	v_nop
	v_fma_f32 v14, -v12, v13, 1.0
	s_delay_alu instid0(VALU_DEP_1) | instskip(NEXT) | instid1(VALU_DEP_1)
	v_fmac_f32_e32 v13, v14, v13
	v_mul_f32_e32 v14, v15, v13
	s_delay_alu instid0(VALU_DEP_1) | instskip(NEXT) | instid1(VALU_DEP_1)
	v_fma_f32 v16, -v12, v14, v15
	v_fmac_f32_e32 v14, v16, v13
	s_delay_alu instid0(VALU_DEP_1) | instskip(NEXT) | instid1(VALU_DEP_1)
	v_fma_f32 v12, -v12, v14, v15
	v_div_fmas_f32 v12, v12, v13, v14
	v_mov_b32_e32 v13, 0x7f
	s_delay_alu instid0(VALU_DEP_2) | instskip(NEXT) | instid1(VALU_DEP_1)
	v_div_fixup_f32 v4, v12, v9, v4
	v_minmax_num_f32 v12, v4, s5, 0xc3e00000
	v_mov_b32_e32 v4, 0x7f
	s_delay_alu instid0(VALU_DEP_2) | instskip(NEXT) | instid1(VALU_DEP_1)
	v_and_b32_e32 v14, 0x7fffffff, v12
	v_cmpx_gt_u32_e32 0x43f00000, v14
	s_cbranch_execz .LBB12_118
; %bb.113:                              ;   in Loop: Header=BB12_75 Depth=1
	s_mov_b32 s9, exec_lo
                                        ; implicit-def: $vgpr13
	v_cmpx_lt_u32_e32 0x3c7fffff, v14
	s_xor_b32 s9, exec_lo, s9
; %bb.114:                              ;   in Loop: Header=BB12_75 Depth=1
	v_bfe_u32 v13, v12, 20, 1
	s_delay_alu instid0(VALU_DEP_1) | instskip(NEXT) | instid1(VALU_DEP_1)
	v_add3_u32 v13, v12, v13, 0x407ffff
	v_lshrrev_b32_e32 v13, 20, v13
; %bb.115:                              ;   in Loop: Header=BB12_75 Depth=1
	s_and_not1_saveexec_b32 s9, s9
; %bb.116:                              ;   in Loop: Header=BB12_75 Depth=1
	v_add_f32_e64 v13, 0x46800000, |v12|
; %bb.117:                              ;   in Loop: Header=BB12_75 Depth=1
	s_or_b32 exec_lo, exec_lo, s9
.LBB12_118:                             ;   in Loop: Header=BB12_75 Depth=1
	s_delay_alu instid0(SALU_CYCLE_1) | instskip(SKIP_3) | instid1(VALU_DEP_2)
	s_or_b32 exec_lo, exec_lo, s8
	v_mul_f32_e32 v10, v8, v10
	v_and_b32_e32 v5, 0xffff0000, v5
	s_mov_b32 s8, exec_lo
	v_bfe_u32 v14, v10, 16, 1
	v_cmp_o_f32_e32 vcc_lo, v10, v10
	s_delay_alu instid0(VALU_DEP_2) | instskip(NEXT) | instid1(VALU_DEP_1)
	v_add3_u32 v14, v10, v14, 0x7fff
	v_and_b32_e32 v14, 0xffff0000, v14
	s_delay_alu instid0(VALU_DEP_1) | instskip(NEXT) | instid1(VALU_DEP_1)
	v_cndmask_b32_e32 v10, 0x7fc00000, v14, vcc_lo
	v_mul_f32_e32 v5, v10, v5
	s_delay_alu instid0(VALU_DEP_1) | instskip(SKIP_1) | instid1(VALU_DEP_2)
	v_bfe_u32 v10, v5, 16, 1
	v_cmp_o_f32_e32 vcc_lo, v5, v5
	v_add3_u32 v10, v5, v10, 0x7fff
	s_delay_alu instid0(VALU_DEP_1) | instskip(NEXT) | instid1(VALU_DEP_1)
	v_and_b32_e32 v10, 0xffff0000, v10
	v_cndmask_b32_e32 v5, 0x7fc00000, v10, vcc_lo
	s_delay_alu instid0(VALU_DEP_1) | instskip(NEXT) | instid1(VALU_DEP_1)
	v_div_scale_f32 v10, null, v9, v9, v5
	v_rcp_f32_e32 v14, v10
	v_nop
	s_delay_alu instid0(TRANS32_DEP_1) | instskip(NEXT) | instid1(VALU_DEP_1)
	v_fma_f32 v15, -v10, v14, 1.0
	v_fmac_f32_e32 v14, v15, v14
	v_div_scale_f32 v15, vcc_lo, v5, v9, v5
	s_delay_alu instid0(VALU_DEP_1) | instskip(NEXT) | instid1(VALU_DEP_1)
	v_mul_f32_e32 v16, v15, v14
	v_fma_f32 v17, -v10, v16, v15
	s_delay_alu instid0(VALU_DEP_1) | instskip(NEXT) | instid1(VALU_DEP_1)
	v_fmac_f32_e32 v16, v17, v14
	v_fma_f32 v10, -v10, v16, v15
	s_delay_alu instid0(VALU_DEP_1) | instskip(NEXT) | instid1(VALU_DEP_1)
	v_div_fmas_f32 v10, v10, v14, v16
	v_div_fixup_f32 v5, v10, v9, v5
	s_delay_alu instid0(VALU_DEP_1) | instskip(NEXT) | instid1(VALU_DEP_1)
	v_minmax_num_f32 v5, v5, s5, 0xc3e00000
	v_and_b32_e32 v10, 0x7fffffff, v5
	s_delay_alu instid0(VALU_DEP_1)
	v_cmpx_gt_u32_e32 0x43f00000, v10
	s_cbranch_execz .LBB12_124
; %bb.119:                              ;   in Loop: Header=BB12_75 Depth=1
	s_mov_b32 s9, exec_lo
                                        ; implicit-def: $vgpr4
	v_cmpx_lt_u32_e32 0x3c7fffff, v10
	s_xor_b32 s9, exec_lo, s9
; %bb.120:                              ;   in Loop: Header=BB12_75 Depth=1
	v_bfe_u32 v4, v5, 20, 1
	s_delay_alu instid0(VALU_DEP_1) | instskip(NEXT) | instid1(VALU_DEP_1)
	v_add3_u32 v4, v5, v4, 0x407ffff
	v_lshrrev_b32_e32 v4, 20, v4
; %bb.121:                              ;   in Loop: Header=BB12_75 Depth=1
	s_and_not1_saveexec_b32 s9, s9
; %bb.122:                              ;   in Loop: Header=BB12_75 Depth=1
	v_add_f32_e64 v4, 0x46800000, |v5|
; %bb.123:                              ;   in Loop: Header=BB12_75 Depth=1
	s_or_b32 exec_lo, exec_lo, s9
.LBB12_124:                             ;   in Loop: Header=BB12_75 Depth=1
	s_delay_alu instid0(SALU_CYCLE_1) | instskip(SKIP_1) | instid1(VALU_DEP_2)
	s_or_b32 exec_lo, exec_lo, s8
	v_dual_lshrrev_b32 v10, 24, v12 :: v_dual_lshrrev_b32 v11, 24, v11
	v_dual_lshrrev_b32 v12, 24, v3 :: v_dual_lshlrev_b32 v4, 24, v4
	v_and_b32_e32 v5, 0x80000000, v5
	s_delay_alu instid0(VALU_DEP_3) | instskip(NEXT) | instid1(VALU_DEP_4)
	v_and_b32_e32 v10, 0x80, v10
	v_and_b32_e32 v11, 0x80, v11
	;; [unrolled: 1-line block ×3, first 2 shown]
	s_mov_b32 s9, -1
	s_mov_b32 s8, exec_lo
	v_and_or_b32 v10, 0xff, v13, v10
	v_and_or_b32 v6, 0xff, v6, v11
	s_delay_alu instid0(VALU_DEP_2) | instskip(NEXT) | instid1(VALU_DEP_2)
	v_dual_mov_b32 v3, v1 :: v_dual_lshlrev_b32 v10, 16, v10
	v_lshlrev_b32_e32 v11, 8, v6
	s_delay_alu instid0(VALU_DEP_2) | instskip(SKIP_3) | instid1(VALU_DEP_3)
	v_or3_b32 v5, v5, v4, v10
	v_and_or_b32 v10, 0x80, v12, v7
	v_add_nc_u32_e32 v4, s2, v0
	v_lshl_add_u64 v[6:7], v[2:3], 2, s[0:1]
	v_or3_b32 v3, v5, v11, v10
	global_store_b32 v[6:7], v3, off
	s_wait_xcnt 0x0
	v_cmpx_gt_u32_e64 s11, v4
	s_cbranch_execz .LBB12_73
; %bb.125:                              ;   in Loop: Header=BB12_75 Depth=1
	s_clause 0x2
	global_load_b64 v[10:11], v4, s[12:13] scale_offset
	global_load_b64 v[12:13], v4, s[14:15] scale_offset
	;; [unrolled: 1-line block ×3, first 2 shown]
	s_mov_b32 s9, exec_lo
	s_wait_loadcnt 0x1
	v_dual_lshlrev_b32 v3, 16, v10 :: v_dual_lshlrev_b32 v5, 16, v12
	v_and_b32_e32 v17, 0xffff0000, v10
	v_alignbit_b32 v10, v11, v10, 16
	v_and_b32_e32 v11, 0xffff0000, v11
	s_wait_loadcnt 0x0
	v_dual_lshlrev_b32 v15, 16, v6 :: v_dual_add_f32 v3, v3, v5
	s_delay_alu instid0(VALU_DEP_3) | instskip(NEXT) | instid1(VALU_DEP_2)
	v_and_b32_e32 v10, 0xffff0000, v10
	v_mul_f32_e32 v5, v8, v3
	s_delay_alu instid0(VALU_DEP_1) | instskip(SKIP_1) | instid1(VALU_DEP_2)
	v_bfe_u32 v14, v5, 16, 1
	v_cmp_o_f32_e32 vcc_lo, v5, v5
	v_add3_u32 v14, v5, v14, 0x7fff
	s_delay_alu instid0(VALU_DEP_1) | instskip(NEXT) | instid1(VALU_DEP_1)
	v_and_b32_e32 v14, 0xffff0000, v14
	v_cndmask_b32_e32 v5, 0x7fc00000, v14, vcc_lo
	s_delay_alu instid0(VALU_DEP_1) | instskip(NEXT) | instid1(VALU_DEP_1)
	v_mul_f32_e32 v5, v5, v15
	v_bfe_u32 v14, v5, 16, 1
	v_cmp_o_f32_e32 vcc_lo, v5, v5
	s_delay_alu instid0(VALU_DEP_2) | instskip(NEXT) | instid1(VALU_DEP_1)
	v_add3_u32 v14, v5, v14, 0x7fff
	v_and_b32_e32 v14, 0xffff0000, v14
	s_delay_alu instid0(VALU_DEP_1) | instskip(NEXT) | instid1(VALU_DEP_1)
	v_cndmask_b32_e32 v5, 0x7fc00000, v14, vcc_lo
	v_div_scale_f32 v14, null, v9, v9, v5
	v_div_scale_f32 v18, vcc_lo, v5, v9, v5
	s_delay_alu instid0(VALU_DEP_2) | instskip(SKIP_1) | instid1(TRANS32_DEP_1)
	v_rcp_f32_e32 v15, v14
	v_nop
	v_fma_f32 v16, -v14, v15, 1.0
	s_delay_alu instid0(VALU_DEP_1) | instskip(SKIP_3) | instid1(VALU_DEP_4)
	v_fmac_f32_e32 v15, v16, v15
	v_alignbit_b32 v16, v13, v12, 16
	v_and_b32_e32 v12, 0xffff0000, v12
	v_and_b32_e32 v13, 0xffff0000, v13
	v_mul_f32_e32 v19, v18, v15
	s_delay_alu instid0(VALU_DEP_4) | instskip(NEXT) | instid1(VALU_DEP_3)
	v_and_b32_e32 v16, 0xffff0000, v16
	v_dual_add_f32 v12, v17, v12 :: v_dual_add_f32 v11, v11, v13
	s_delay_alu instid0(VALU_DEP_3) | instskip(NEXT) | instid1(VALU_DEP_3)
	v_fma_f32 v17, -v14, v19, v18
	v_add_f32_e32 v13, v10, v16
	s_delay_alu instid0(VALU_DEP_3) | instskip(SKIP_1) | instid1(VALU_DEP_4)
	v_bfe_u32 v16, v12, 16, 1
	v_bfe_u32 v10, v3, 16, 1
	v_fmac_f32_e32 v19, v17, v15
	v_bfe_u32 v17, v11, 16, 1
	v_bfe_u32 v20, v13, 16, 1
	v_add3_u32 v16, v12, v16, 0x7fff
	v_add3_u32 v10, v3, v10, 0x7fff
	v_fma_f32 v14, -v14, v19, v18
	v_add3_u32 v17, v11, v17, 0x7fff
	v_add3_u32 v18, v13, v20, 0x7fff
	s_delay_alu instid0(VALU_DEP_3)
	v_div_fmas_f32 v14, v14, v15, v19
	v_and_b32_e32 v15, 0xffff0000, v16
	v_cmp_o_f32_e32 vcc_lo, v12, v12
	v_and_b32_e32 v16, 0xffff0000, v17
	v_lshrrev_b32_e32 v10, 16, v10
	v_lshrrev_b32_e32 v17, 16, v18
	v_div_fixup_f32 v5, v14, v9, v5
	v_cndmask_b32_e32 v14, 0x7fc00000, v15, vcc_lo
	v_cmp_o_f32_e32 vcc_lo, v3, v3
	s_delay_alu instid0(VALU_DEP_3) | instskip(SKIP_3) | instid1(VALU_DEP_2)
	v_minmax_num_f32 v3, v5, s5, 0xc3e00000
	v_mov_b32_e32 v5, 0x7f
	v_cndmask_b32_e32 v10, 0x7fc0, v10, vcc_lo
	v_cmp_o_f32_e32 vcc_lo, v11, v11
	v_or_b32_e32 v10, v10, v14
	v_cndmask_b32_e32 v15, 0x7fc00000, v16, vcc_lo
	v_cmp_o_f32_e32 vcc_lo, v13, v13
	v_and_b32_e32 v14, 0x7fffffff, v3
	v_cndmask_b32_e32 v16, 0x7fc0, v17, vcc_lo
	s_delay_alu instid0(VALU_DEP_1)
	v_or3_b32 v17, 0, v16, v15
	v_or3_b32 v16, v10, 0, 0
	v_mov_b32_e32 v10, 0x7f
	global_store_b64 v4, v[16:17], s[14:15] scale_offset
	s_wait_xcnt 0x0
	v_cmpx_gt_u32_e32 0x43f00000, v14
	s_cbranch_execz .LBB12_131
; %bb.126:                              ;   in Loop: Header=BB12_75 Depth=1
	s_mov_b32 s10, exec_lo
                                        ; implicit-def: $vgpr10
	v_cmpx_lt_u32_e32 0x3c7fffff, v14
	s_xor_b32 s10, exec_lo, s10
; %bb.127:                              ;   in Loop: Header=BB12_75 Depth=1
	v_bfe_u32 v10, v3, 20, 1
	s_delay_alu instid0(VALU_DEP_1) | instskip(NEXT) | instid1(VALU_DEP_1)
	v_add3_u32 v10, v3, v10, 0x407ffff
	v_lshrrev_b32_e32 v10, 20, v10
; %bb.128:                              ;   in Loop: Header=BB12_75 Depth=1
	s_and_not1_saveexec_b32 s10, s10
; %bb.129:                              ;   in Loop: Header=BB12_75 Depth=1
	v_add_f32_e64 v10, 0x46800000, |v3|
; %bb.130:                              ;   in Loop: Header=BB12_75 Depth=1
	s_or_b32 exec_lo, exec_lo, s10
.LBB12_131:                             ;   in Loop: Header=BB12_75 Depth=1
	s_delay_alu instid0(SALU_CYCLE_1) | instskip(SKIP_3) | instid1(VALU_DEP_2)
	s_or_b32 exec_lo, exec_lo, s9
	v_mul_f32_e32 v12, v8, v12
	v_and_b32_e32 v15, 0xffff0000, v6
	s_mov_b32 s9, exec_lo
	v_bfe_u32 v14, v12, 16, 1
	v_cmp_o_f32_e32 vcc_lo, v12, v12
	s_delay_alu instid0(VALU_DEP_2) | instskip(NEXT) | instid1(VALU_DEP_1)
	v_add3_u32 v14, v12, v14, 0x7fff
	v_and_b32_e32 v14, 0xffff0000, v14
	s_delay_alu instid0(VALU_DEP_1) | instskip(NEXT) | instid1(VALU_DEP_1)
	v_cndmask_b32_e32 v12, 0x7fc00000, v14, vcc_lo
	v_mul_f32_e32 v12, v12, v15
	s_delay_alu instid0(VALU_DEP_1) | instskip(SKIP_1) | instid1(VALU_DEP_2)
	v_bfe_u32 v14, v12, 16, 1
	v_cmp_o_f32_e32 vcc_lo, v12, v12
	v_add3_u32 v14, v12, v14, 0x7fff
	s_delay_alu instid0(VALU_DEP_1) | instskip(NEXT) | instid1(VALU_DEP_1)
	v_and_b32_e32 v14, 0xffff0000, v14
	v_cndmask_b32_e32 v12, 0x7fc00000, v14, vcc_lo
	s_delay_alu instid0(VALU_DEP_1) | instskip(NEXT) | instid1(VALU_DEP_1)
	v_div_scale_f32 v14, null, v9, v9, v12
	v_rcp_f32_e32 v15, v14
	v_nop
	s_delay_alu instid0(TRANS32_DEP_1) | instskip(NEXT) | instid1(VALU_DEP_1)
	v_fma_f32 v16, -v14, v15, 1.0
	v_fmac_f32_e32 v15, v16, v15
	v_div_scale_f32 v16, vcc_lo, v12, v9, v12
	s_delay_alu instid0(VALU_DEP_1) | instskip(NEXT) | instid1(VALU_DEP_1)
	v_mul_f32_e32 v17, v16, v15
	v_fma_f32 v18, -v14, v17, v16
	s_delay_alu instid0(VALU_DEP_1) | instskip(NEXT) | instid1(VALU_DEP_1)
	v_fmac_f32_e32 v17, v18, v15
	v_fma_f32 v14, -v14, v17, v16
	s_delay_alu instid0(VALU_DEP_1) | instskip(NEXT) | instid1(VALU_DEP_1)
	v_div_fmas_f32 v14, v14, v15, v17
	v_div_fixup_f32 v12, v14, v9, v12
	s_delay_alu instid0(VALU_DEP_1) | instskip(NEXT) | instid1(VALU_DEP_1)
	v_minmax_num_f32 v12, v12, s5, 0xc3e00000
	v_and_b32_e32 v14, 0x7fffffff, v12
	s_delay_alu instid0(VALU_DEP_1)
	v_cmpx_gt_u32_e32 0x43f00000, v14
	s_cbranch_execz .LBB12_137
; %bb.132:                              ;   in Loop: Header=BB12_75 Depth=1
	s_mov_b32 s10, exec_lo
                                        ; implicit-def: $vgpr5
	v_cmpx_lt_u32_e32 0x3c7fffff, v14
	s_xor_b32 s10, exec_lo, s10
; %bb.133:                              ;   in Loop: Header=BB12_75 Depth=1
	v_bfe_u32 v5, v12, 20, 1
	s_delay_alu instid0(VALU_DEP_1) | instskip(NEXT) | instid1(VALU_DEP_1)
	v_add3_u32 v5, v12, v5, 0x407ffff
	v_lshrrev_b32_e32 v5, 20, v5
; %bb.134:                              ;   in Loop: Header=BB12_75 Depth=1
	s_and_not1_saveexec_b32 s10, s10
; %bb.135:                              ;   in Loop: Header=BB12_75 Depth=1
	v_add_f32_e64 v5, 0x46800000, |v12|
; %bb.136:                              ;   in Loop: Header=BB12_75 Depth=1
	s_or_b32 exec_lo, exec_lo, s10
.LBB12_137:                             ;   in Loop: Header=BB12_75 Depth=1
	s_delay_alu instid0(SALU_CYCLE_1) | instskip(SKIP_3) | instid1(VALU_DEP_2)
	s_or_b32 exec_lo, exec_lo, s9
	v_mul_f32_e32 v13, v8, v13
	v_alignbit_b32 v6, v7, v6, 16
	s_mov_b32 s9, exec_lo
	v_bfe_u32 v14, v13, 16, 1
	v_cmp_o_f32_e32 vcc_lo, v13, v13
	s_delay_alu instid0(VALU_DEP_3) | instskip(NEXT) | instid1(VALU_DEP_3)
	v_and_b32_e32 v6, 0xffff0000, v6
	v_add3_u32 v14, v13, v14, 0x7fff
	s_delay_alu instid0(VALU_DEP_1) | instskip(NEXT) | instid1(VALU_DEP_1)
	v_and_b32_e32 v14, 0xffff0000, v14
	v_cndmask_b32_e32 v13, 0x7fc00000, v14, vcc_lo
	s_delay_alu instid0(VALU_DEP_1) | instskip(NEXT) | instid1(VALU_DEP_1)
	v_mul_f32_e32 v6, v13, v6
	v_bfe_u32 v13, v6, 16, 1
	v_cmp_o_f32_e32 vcc_lo, v6, v6
	s_delay_alu instid0(VALU_DEP_2) | instskip(NEXT) | instid1(VALU_DEP_1)
	v_add3_u32 v13, v6, v13, 0x7fff
	v_and_b32_e32 v13, 0xffff0000, v13
	s_delay_alu instid0(VALU_DEP_1) | instskip(NEXT) | instid1(VALU_DEP_1)
	v_cndmask_b32_e32 v6, 0x7fc00000, v13, vcc_lo
	v_div_scale_f32 v13, null, v9, v9, v6
	v_div_scale_f32 v16, vcc_lo, v6, v9, v6
	s_delay_alu instid0(VALU_DEP_2) | instskip(SKIP_1) | instid1(TRANS32_DEP_1)
	v_rcp_f32_e32 v14, v13
	v_nop
	v_fma_f32 v15, -v13, v14, 1.0
	s_delay_alu instid0(VALU_DEP_1) | instskip(NEXT) | instid1(VALU_DEP_1)
	v_fmac_f32_e32 v14, v15, v14
	v_mul_f32_e32 v15, v16, v14
	s_delay_alu instid0(VALU_DEP_1) | instskip(NEXT) | instid1(VALU_DEP_1)
	v_fma_f32 v17, -v13, v15, v16
	v_fmac_f32_e32 v15, v17, v14
	s_delay_alu instid0(VALU_DEP_1) | instskip(NEXT) | instid1(VALU_DEP_1)
	v_fma_f32 v13, -v13, v15, v16
	v_div_fmas_f32 v13, v13, v14, v15
	v_mov_b32_e32 v14, 0x7f
	s_delay_alu instid0(VALU_DEP_2) | instskip(NEXT) | instid1(VALU_DEP_1)
	v_div_fixup_f32 v6, v13, v9, v6
	v_minmax_num_f32 v13, v6, s5, 0xc3e00000
	v_mov_b32_e32 v6, 0x7f
	s_delay_alu instid0(VALU_DEP_2) | instskip(NEXT) | instid1(VALU_DEP_1)
	v_and_b32_e32 v15, 0x7fffffff, v13
	v_cmpx_gt_u32_e32 0x43f00000, v15
	s_cbranch_execz .LBB12_143
; %bb.138:                              ;   in Loop: Header=BB12_75 Depth=1
	s_mov_b32 s10, exec_lo
                                        ; implicit-def: $vgpr14
	v_cmpx_lt_u32_e32 0x3c7fffff, v15
	s_xor_b32 s10, exec_lo, s10
; %bb.139:                              ;   in Loop: Header=BB12_75 Depth=1
	v_bfe_u32 v14, v13, 20, 1
	s_delay_alu instid0(VALU_DEP_1) | instskip(NEXT) | instid1(VALU_DEP_1)
	v_add3_u32 v14, v13, v14, 0x407ffff
	v_lshrrev_b32_e32 v14, 20, v14
; %bb.140:                              ;   in Loop: Header=BB12_75 Depth=1
	s_and_not1_saveexec_b32 s10, s10
; %bb.141:                              ;   in Loop: Header=BB12_75 Depth=1
	v_add_f32_e64 v14, 0x46800000, |v13|
; %bb.142:                              ;   in Loop: Header=BB12_75 Depth=1
	s_or_b32 exec_lo, exec_lo, s10
.LBB12_143:                             ;   in Loop: Header=BB12_75 Depth=1
	s_delay_alu instid0(SALU_CYCLE_1) | instskip(SKIP_3) | instid1(VALU_DEP_2)
	s_or_b32 exec_lo, exec_lo, s9
	v_mul_f32_e32 v11, v8, v11
	v_and_b32_e32 v7, 0xffff0000, v7
	s_mov_b32 s9, exec_lo
	v_bfe_u32 v15, v11, 16, 1
	v_cmp_o_f32_e32 vcc_lo, v11, v11
	s_delay_alu instid0(VALU_DEP_2) | instskip(NEXT) | instid1(VALU_DEP_1)
	v_add3_u32 v15, v11, v15, 0x7fff
	v_and_b32_e32 v15, 0xffff0000, v15
	s_delay_alu instid0(VALU_DEP_1) | instskip(NEXT) | instid1(VALU_DEP_1)
	v_cndmask_b32_e32 v11, 0x7fc00000, v15, vcc_lo
	v_mul_f32_e32 v7, v11, v7
	s_delay_alu instid0(VALU_DEP_1) | instskip(SKIP_1) | instid1(VALU_DEP_2)
	v_bfe_u32 v11, v7, 16, 1
	v_cmp_o_f32_e32 vcc_lo, v7, v7
	v_add3_u32 v11, v7, v11, 0x7fff
	s_delay_alu instid0(VALU_DEP_1) | instskip(NEXT) | instid1(VALU_DEP_1)
	v_and_b32_e32 v11, 0xffff0000, v11
	v_cndmask_b32_e32 v7, 0x7fc00000, v11, vcc_lo
	s_delay_alu instid0(VALU_DEP_1) | instskip(NEXT) | instid1(VALU_DEP_1)
	v_div_scale_f32 v11, null, v9, v9, v7
	v_rcp_f32_e32 v15, v11
	v_nop
	s_delay_alu instid0(TRANS32_DEP_1) | instskip(NEXT) | instid1(VALU_DEP_1)
	v_fma_f32 v16, -v11, v15, 1.0
	v_fmac_f32_e32 v15, v16, v15
	v_div_scale_f32 v16, vcc_lo, v7, v9, v7
	s_delay_alu instid0(VALU_DEP_1) | instskip(NEXT) | instid1(VALU_DEP_1)
	v_mul_f32_e32 v17, v16, v15
	v_fma_f32 v18, -v11, v17, v16
	s_delay_alu instid0(VALU_DEP_1) | instskip(NEXT) | instid1(VALU_DEP_1)
	v_fmac_f32_e32 v17, v18, v15
	v_fma_f32 v11, -v11, v17, v16
	s_delay_alu instid0(VALU_DEP_1) | instskip(NEXT) | instid1(VALU_DEP_1)
	v_div_fmas_f32 v11, v11, v15, v17
	v_div_fixup_f32 v7, v11, v9, v7
	s_delay_alu instid0(VALU_DEP_1) | instskip(NEXT) | instid1(VALU_DEP_1)
	v_minmax_num_f32 v7, v7, s5, 0xc3e00000
	v_and_b32_e32 v11, 0x7fffffff, v7
	s_delay_alu instid0(VALU_DEP_1)
	v_cmpx_gt_u32_e32 0x43f00000, v11
	s_cbranch_execz .LBB12_149
; %bb.144:                              ;   in Loop: Header=BB12_75 Depth=1
	s_mov_b32 s10, exec_lo
                                        ; implicit-def: $vgpr6
	v_cmpx_lt_u32_e32 0x3c7fffff, v11
	s_xor_b32 s10, exec_lo, s10
; %bb.145:                              ;   in Loop: Header=BB12_75 Depth=1
	v_bfe_u32 v6, v7, 20, 1
	s_delay_alu instid0(VALU_DEP_1) | instskip(NEXT) | instid1(VALU_DEP_1)
	v_add3_u32 v6, v7, v6, 0x407ffff
	v_lshrrev_b32_e32 v6, 20, v6
; %bb.146:                              ;   in Loop: Header=BB12_75 Depth=1
	s_and_not1_saveexec_b32 s10, s10
; %bb.147:                              ;   in Loop: Header=BB12_75 Depth=1
	v_add_f32_e64 v6, 0x46800000, |v7|
; %bb.148:                              ;   in Loop: Header=BB12_75 Depth=1
	s_or_b32 exec_lo, exec_lo, s10
.LBB12_149:                             ;   in Loop: Header=BB12_75 Depth=1
	s_delay_alu instid0(SALU_CYCLE_1) | instskip(SKIP_1) | instid1(VALU_DEP_2)
	s_or_b32 exec_lo, exec_lo, s9
	v_dual_lshrrev_b32 v11, 24, v13 :: v_dual_lshrrev_b32 v12, 24, v12
	v_dual_lshrrev_b32 v3, 24, v3 :: v_dual_lshlrev_b32 v6, 24, v6
	v_and_b32_e32 v7, 0x80000000, v7
	s_delay_alu instid0(VALU_DEP_3) | instskip(NEXT) | instid1(VALU_DEP_4)
	v_and_b32_e32 v11, 0x80, v11
	v_and_b32_e32 v12, 0x80, v12
	;; [unrolled: 1-line block ×3, first 2 shown]
	v_add_nc_u32_e32 v0, s3, v0
	s_mov_b32 s10, -1
	v_and_or_b32 v11, 0xff, v14, v11
	v_and_or_b32 v12, 0xff, v5, v12
	;; [unrolled: 1-line block ×3, first 2 shown]
	s_mov_b32 s9, exec_lo
	s_delay_alu instid0(VALU_DEP_3) | instskip(NEXT) | instid1(VALU_DEP_3)
	v_dual_mov_b32 v5, v1 :: v_dual_lshlrev_b32 v11, 16, v11
	v_lshlrev_b32_e32 v12, 8, v12
	s_delay_alu instid0(VALU_DEP_2) | instskip(NEXT) | instid1(VALU_DEP_3)
	v_lshl_add_u64 v[4:5], v[4:5], 2, s[0:1]
	v_or3_b32 v6, v7, v6, v11
	s_delay_alu instid0(VALU_DEP_1)
	v_or3_b32 v3, v6, v12, v3
	global_store_b32 v[4:5], v3, off
	s_wait_xcnt 0x0
	v_cmpx_gt_u32_e64 s11, v0
	s_cbranch_execz .LBB12_72
; %bb.150:                              ;   in Loop: Header=BB12_75 Depth=1
	s_clause 0x2
	global_load_b64 v[6:7], v0, s[12:13] scale_offset
	global_load_b64 v[10:11], v0, s[14:15] scale_offset
	;; [unrolled: 1-line block ×3, first 2 shown]
	s_mov_b32 s10, exec_lo
	s_wait_loadcnt 0x2
	v_lshlrev_b32_e32 v3, 16, v6
	s_wait_loadcnt 0x0
	v_dual_lshlrev_b32 v12, 16, v10 :: v_dual_lshlrev_b32 v14, 16, v4
	v_and_b32_e32 v16, 0xffff0000, v6
	v_alignbit_b32 v6, v7, v6, 16
	v_and_b32_e32 v7, 0xffff0000, v7
	s_delay_alu instid0(VALU_DEP_4) | instskip(SKIP_1) | instid1(VALU_DEP_4)
	v_add_f32_e32 v3, v3, v12
	v_and_b32_e32 v18, 0xffff0000, v11
	v_and_b32_e32 v6, 0xffff0000, v6
	s_delay_alu instid0(VALU_DEP_3) | instskip(NEXT) | instid1(VALU_DEP_1)
	v_mul_f32_e32 v12, v8, v3
	v_bfe_u32 v13, v12, 16, 1
	v_cmp_o_f32_e32 vcc_lo, v12, v12
	s_delay_alu instid0(VALU_DEP_2) | instskip(NEXT) | instid1(VALU_DEP_1)
	v_add3_u32 v13, v12, v13, 0x7fff
	v_and_b32_e32 v13, 0xffff0000, v13
	s_delay_alu instid0(VALU_DEP_1) | instskip(NEXT) | instid1(VALU_DEP_1)
	v_cndmask_b32_e32 v12, 0x7fc00000, v13, vcc_lo
	v_mul_f32_e32 v12, v12, v14
	s_delay_alu instid0(VALU_DEP_1) | instskip(SKIP_1) | instid1(VALU_DEP_2)
	v_bfe_u32 v13, v12, 16, 1
	v_cmp_o_f32_e32 vcc_lo, v12, v12
	v_add3_u32 v13, v12, v13, 0x7fff
	s_delay_alu instid0(VALU_DEP_1) | instskip(NEXT) | instid1(VALU_DEP_1)
	v_and_b32_e32 v13, 0xffff0000, v13
	v_cndmask_b32_e32 v13, 0x7fc00000, v13, vcc_lo
	s_delay_alu instid0(VALU_DEP_1) | instskip(SKIP_1) | instid1(VALU_DEP_2)
	v_div_scale_f32 v14, null, v9, v9, v13
	v_div_scale_f32 v17, vcc_lo, v13, v9, v13
	v_rcp_f32_e32 v15, v14
	v_nop
	s_delay_alu instid0(TRANS32_DEP_1) | instskip(NEXT) | instid1(VALU_DEP_1)
	v_fma_f32 v12, -v14, v15, 1.0
	v_fmac_f32_e32 v15, v12, v15
	v_alignbit_b32 v12, v11, v10, 16
	v_and_b32_e32 v10, 0xffff0000, v10
	s_delay_alu instid0(VALU_DEP_2) | instskip(NEXT) | instid1(VALU_DEP_1)
	v_and_b32_e32 v12, 0xffff0000, v12
	v_dual_add_f32 v12, v6, v12 :: v_dual_mul_f32 v19, v17, v15
	s_delay_alu instid0(VALU_DEP_3) | instskip(SKIP_2) | instid1(VALU_DEP_4)
	v_add_f32_e32 v11, v16, v10
	v_bfe_u32 v6, v3, 16, 1
	v_add_f32_e32 v10, v7, v18
	v_bfe_u32 v18, v12, 16, 1
	v_fma_f32 v16, -v14, v19, v17
	v_bfe_u32 v7, v11, 16, 1
	v_add3_u32 v6, v3, v6, 0x7fff
	s_delay_alu instid0(VALU_DEP_3) | instskip(NEXT) | instid1(VALU_DEP_3)
	v_fmac_f32_e32 v19, v16, v15
	v_add3_u32 v7, v11, v7, 0x7fff
	s_delay_alu instid0(VALU_DEP_3) | instskip(SKIP_1) | instid1(VALU_DEP_4)
	v_lshrrev_b32_e32 v6, 16, v6
	v_bfe_u32 v16, v10, 16, 1
	v_fma_f32 v14, -v14, v19, v17
	s_delay_alu instid0(VALU_DEP_4) | instskip(SKIP_1) | instid1(VALU_DEP_4)
	v_and_b32_e32 v7, 0xffff0000, v7
	v_add3_u32 v17, v12, v18, 0x7fff
	v_add3_u32 v16, v10, v16, 0x7fff
	s_delay_alu instid0(VALU_DEP_4) | instskip(SKIP_1) | instid1(VALU_DEP_3)
	v_div_fmas_f32 v14, v14, v15, v19
	v_cmp_o_f32_e32 vcc_lo, v11, v11
	v_and_b32_e32 v15, 0xffff0000, v16
	v_lshrrev_b32_e32 v16, 16, v17
	s_delay_alu instid0(VALU_DEP_4) | instskip(SKIP_2) | instid1(VALU_DEP_3)
	v_div_fixup_f32 v13, v14, v9, v13
	v_cndmask_b32_e32 v7, 0x7fc00000, v7, vcc_lo
	v_cmp_o_f32_e32 vcc_lo, v3, v3
	v_minmax_num_f32 v3, v13, s5, 0xc3e00000
	v_cndmask_b32_e32 v6, 0x7fc0, v6, vcc_lo
	v_cmp_o_f32_e32 vcc_lo, v10, v10
	s_delay_alu instid0(VALU_DEP_3) | instskip(NEXT) | instid1(VALU_DEP_3)
	v_and_b32_e32 v13, 0x7fffffff, v3
	v_or_b32_e32 v7, v6, v7
	v_cndmask_b32_e32 v14, 0x7fc00000, v15, vcc_lo
	v_cmp_o_f32_e32 vcc_lo, v12, v12
	v_mov_b32_e32 v6, 0x7f
	v_cndmask_b32_e32 v15, 0x7fc0, v16, vcc_lo
	s_delay_alu instid0(VALU_DEP_1)
	v_or3_b32 v15, 0, v15, v14
	v_or3_b32 v14, v7, 0, 0
	v_mov_b32_e32 v7, 0x7f
	global_store_b64 v0, v[14:15], s[14:15] scale_offset
	s_wait_xcnt 0x0
	v_cmpx_gt_u32_e32 0x43f00000, v13
	s_cbranch_execz .LBB12_156
; %bb.151:                              ;   in Loop: Header=BB12_75 Depth=1
	s_mov_b32 s16, exec_lo
                                        ; implicit-def: $vgpr7
	v_cmpx_lt_u32_e32 0x3c7fffff, v13
	s_xor_b32 s16, exec_lo, s16
; %bb.152:                              ;   in Loop: Header=BB12_75 Depth=1
	v_bfe_u32 v7, v3, 20, 1
	s_delay_alu instid0(VALU_DEP_1) | instskip(NEXT) | instid1(VALU_DEP_1)
	v_add3_u32 v7, v3, v7, 0x407ffff
	v_lshrrev_b32_e32 v7, 20, v7
; %bb.153:                              ;   in Loop: Header=BB12_75 Depth=1
	s_and_not1_saveexec_b32 s16, s16
; %bb.154:                              ;   in Loop: Header=BB12_75 Depth=1
	v_add_f32_e64 v7, 0x46800000, |v3|
; %bb.155:                              ;   in Loop: Header=BB12_75 Depth=1
	s_or_b32 exec_lo, exec_lo, s16
.LBB12_156:                             ;   in Loop: Header=BB12_75 Depth=1
	s_delay_alu instid0(SALU_CYCLE_1) | instskip(SKIP_3) | instid1(VALU_DEP_2)
	s_or_b32 exec_lo, exec_lo, s10
	v_mul_f32_e32 v11, v8, v11
	v_and_b32_e32 v14, 0xffff0000, v4
	s_mov_b32 s10, exec_lo
	v_bfe_u32 v13, v11, 16, 1
	v_cmp_o_f32_e32 vcc_lo, v11, v11
	s_delay_alu instid0(VALU_DEP_2) | instskip(NEXT) | instid1(VALU_DEP_1)
	v_add3_u32 v13, v11, v13, 0x7fff
	v_and_b32_e32 v13, 0xffff0000, v13
	s_delay_alu instid0(VALU_DEP_1) | instskip(NEXT) | instid1(VALU_DEP_1)
	v_cndmask_b32_e32 v11, 0x7fc00000, v13, vcc_lo
	v_mul_f32_e32 v11, v11, v14
	s_delay_alu instid0(VALU_DEP_1) | instskip(SKIP_1) | instid1(VALU_DEP_2)
	v_bfe_u32 v13, v11, 16, 1
	v_cmp_o_f32_e32 vcc_lo, v11, v11
	v_add3_u32 v13, v11, v13, 0x7fff
	s_delay_alu instid0(VALU_DEP_1) | instskip(NEXT) | instid1(VALU_DEP_1)
	v_and_b32_e32 v13, 0xffff0000, v13
	v_cndmask_b32_e32 v11, 0x7fc00000, v13, vcc_lo
	s_delay_alu instid0(VALU_DEP_1) | instskip(NEXT) | instid1(VALU_DEP_1)
	v_div_scale_f32 v13, null, v9, v9, v11
	v_rcp_f32_e32 v14, v13
	v_nop
	s_delay_alu instid0(TRANS32_DEP_1) | instskip(NEXT) | instid1(VALU_DEP_1)
	v_fma_f32 v15, -v13, v14, 1.0
	v_fmac_f32_e32 v14, v15, v14
	v_div_scale_f32 v15, vcc_lo, v11, v9, v11
	s_delay_alu instid0(VALU_DEP_1) | instskip(NEXT) | instid1(VALU_DEP_1)
	v_mul_f32_e32 v16, v15, v14
	v_fma_f32 v17, -v13, v16, v15
	s_delay_alu instid0(VALU_DEP_1) | instskip(NEXT) | instid1(VALU_DEP_1)
	v_fmac_f32_e32 v16, v17, v14
	v_fma_f32 v13, -v13, v16, v15
	s_delay_alu instid0(VALU_DEP_1) | instskip(NEXT) | instid1(VALU_DEP_1)
	v_div_fmas_f32 v13, v13, v14, v16
	v_div_fixup_f32 v11, v13, v9, v11
	s_delay_alu instid0(VALU_DEP_1) | instskip(NEXT) | instid1(VALU_DEP_1)
	v_minmax_num_f32 v11, v11, s5, 0xc3e00000
	v_and_b32_e32 v13, 0x7fffffff, v11
	s_delay_alu instid0(VALU_DEP_1)
	v_cmpx_gt_u32_e32 0x43f00000, v13
	s_cbranch_execz .LBB12_162
; %bb.157:                              ;   in Loop: Header=BB12_75 Depth=1
	s_mov_b32 s16, exec_lo
                                        ; implicit-def: $vgpr6
	v_cmpx_lt_u32_e32 0x3c7fffff, v13
	s_xor_b32 s16, exec_lo, s16
; %bb.158:                              ;   in Loop: Header=BB12_75 Depth=1
	v_bfe_u32 v6, v11, 20, 1
	s_delay_alu instid0(VALU_DEP_1) | instskip(NEXT) | instid1(VALU_DEP_1)
	v_add3_u32 v6, v11, v6, 0x407ffff
	v_lshrrev_b32_e32 v6, 20, v6
; %bb.159:                              ;   in Loop: Header=BB12_75 Depth=1
	s_and_not1_saveexec_b32 s16, s16
; %bb.160:                              ;   in Loop: Header=BB12_75 Depth=1
	v_add_f32_e64 v6, 0x46800000, |v11|
; %bb.161:                              ;   in Loop: Header=BB12_75 Depth=1
	s_or_b32 exec_lo, exec_lo, s16
.LBB12_162:                             ;   in Loop: Header=BB12_75 Depth=1
	s_delay_alu instid0(SALU_CYCLE_1) | instskip(SKIP_3) | instid1(VALU_DEP_2)
	s_or_b32 exec_lo, exec_lo, s10
	v_mul_f32_e32 v12, v8, v12
	v_alignbit_b32 v4, v5, v4, 16
	s_mov_b32 s10, exec_lo
	v_bfe_u32 v13, v12, 16, 1
	v_cmp_o_f32_e32 vcc_lo, v12, v12
	s_delay_alu instid0(VALU_DEP_3) | instskip(NEXT) | instid1(VALU_DEP_3)
	v_and_b32_e32 v4, 0xffff0000, v4
	v_add3_u32 v13, v12, v13, 0x7fff
	s_delay_alu instid0(VALU_DEP_1) | instskip(NEXT) | instid1(VALU_DEP_1)
	v_and_b32_e32 v13, 0xffff0000, v13
	v_cndmask_b32_e32 v12, 0x7fc00000, v13, vcc_lo
	s_delay_alu instid0(VALU_DEP_1) | instskip(NEXT) | instid1(VALU_DEP_1)
	v_mul_f32_e32 v4, v12, v4
	v_bfe_u32 v12, v4, 16, 1
	v_cmp_o_f32_e32 vcc_lo, v4, v4
	s_delay_alu instid0(VALU_DEP_2) | instskip(NEXT) | instid1(VALU_DEP_1)
	v_add3_u32 v12, v4, v12, 0x7fff
	v_and_b32_e32 v12, 0xffff0000, v12
	s_delay_alu instid0(VALU_DEP_1) | instskip(NEXT) | instid1(VALU_DEP_1)
	v_cndmask_b32_e32 v4, 0x7fc00000, v12, vcc_lo
	v_div_scale_f32 v12, null, v9, v9, v4
	v_div_scale_f32 v15, vcc_lo, v4, v9, v4
	s_delay_alu instid0(VALU_DEP_2) | instskip(SKIP_1) | instid1(TRANS32_DEP_1)
	v_rcp_f32_e32 v13, v12
	v_nop
	v_fma_f32 v14, -v12, v13, 1.0
	s_delay_alu instid0(VALU_DEP_1) | instskip(NEXT) | instid1(VALU_DEP_1)
	v_fmac_f32_e32 v13, v14, v13
	v_mul_f32_e32 v14, v15, v13
	s_delay_alu instid0(VALU_DEP_1) | instskip(NEXT) | instid1(VALU_DEP_1)
	v_fma_f32 v16, -v12, v14, v15
	v_fmac_f32_e32 v14, v16, v13
	s_delay_alu instid0(VALU_DEP_1) | instskip(NEXT) | instid1(VALU_DEP_1)
	v_fma_f32 v12, -v12, v14, v15
	v_div_fmas_f32 v12, v12, v13, v14
	v_mov_b32_e32 v13, 0x7f
	s_delay_alu instid0(VALU_DEP_2) | instskip(NEXT) | instid1(VALU_DEP_1)
	v_div_fixup_f32 v4, v12, v9, v4
	v_minmax_num_f32 v12, v4, s5, 0xc3e00000
	v_mov_b32_e32 v4, 0x7f
	s_delay_alu instid0(VALU_DEP_2) | instskip(NEXT) | instid1(VALU_DEP_1)
	v_and_b32_e32 v14, 0x7fffffff, v12
	v_cmpx_gt_u32_e32 0x43f00000, v14
	s_cbranch_execz .LBB12_168
; %bb.163:                              ;   in Loop: Header=BB12_75 Depth=1
	s_mov_b32 s16, exec_lo
                                        ; implicit-def: $vgpr13
	v_cmpx_lt_u32_e32 0x3c7fffff, v14
	s_xor_b32 s16, exec_lo, s16
; %bb.164:                              ;   in Loop: Header=BB12_75 Depth=1
	v_bfe_u32 v13, v12, 20, 1
	s_delay_alu instid0(VALU_DEP_1) | instskip(NEXT) | instid1(VALU_DEP_1)
	v_add3_u32 v13, v12, v13, 0x407ffff
	v_lshrrev_b32_e32 v13, 20, v13
; %bb.165:                              ;   in Loop: Header=BB12_75 Depth=1
	s_and_not1_saveexec_b32 s16, s16
; %bb.166:                              ;   in Loop: Header=BB12_75 Depth=1
	v_add_f32_e64 v13, 0x46800000, |v12|
; %bb.167:                              ;   in Loop: Header=BB12_75 Depth=1
	s_or_b32 exec_lo, exec_lo, s16
.LBB12_168:                             ;   in Loop: Header=BB12_75 Depth=1
	s_delay_alu instid0(SALU_CYCLE_1) | instskip(SKIP_3) | instid1(VALU_DEP_2)
	s_or_b32 exec_lo, exec_lo, s10
	v_mul_f32_e32 v10, v8, v10
	v_and_b32_e32 v5, 0xffff0000, v5
	s_mov_b32 s10, exec_lo
	v_bfe_u32 v14, v10, 16, 1
	v_cmp_o_f32_e32 vcc_lo, v10, v10
	s_delay_alu instid0(VALU_DEP_2) | instskip(NEXT) | instid1(VALU_DEP_1)
	v_add3_u32 v14, v10, v14, 0x7fff
	v_and_b32_e32 v14, 0xffff0000, v14
	s_delay_alu instid0(VALU_DEP_1) | instskip(NEXT) | instid1(VALU_DEP_1)
	v_cndmask_b32_e32 v10, 0x7fc00000, v14, vcc_lo
	v_mul_f32_e32 v5, v10, v5
	s_delay_alu instid0(VALU_DEP_1) | instskip(SKIP_1) | instid1(VALU_DEP_2)
	v_bfe_u32 v10, v5, 16, 1
	v_cmp_o_f32_e32 vcc_lo, v5, v5
	v_add3_u32 v10, v5, v10, 0x7fff
	s_delay_alu instid0(VALU_DEP_1) | instskip(NEXT) | instid1(VALU_DEP_1)
	v_and_b32_e32 v10, 0xffff0000, v10
	v_cndmask_b32_e32 v5, 0x7fc00000, v10, vcc_lo
	s_delay_alu instid0(VALU_DEP_1) | instskip(NEXT) | instid1(VALU_DEP_1)
	v_div_scale_f32 v10, null, v9, v9, v5
	v_rcp_f32_e32 v14, v10
	v_nop
	s_delay_alu instid0(TRANS32_DEP_1) | instskip(NEXT) | instid1(VALU_DEP_1)
	v_fma_f32 v15, -v10, v14, 1.0
	v_fmac_f32_e32 v14, v15, v14
	v_div_scale_f32 v15, vcc_lo, v5, v9, v5
	s_delay_alu instid0(VALU_DEP_1) | instskip(NEXT) | instid1(VALU_DEP_1)
	v_mul_f32_e32 v16, v15, v14
	v_fma_f32 v17, -v10, v16, v15
	s_delay_alu instid0(VALU_DEP_1) | instskip(NEXT) | instid1(VALU_DEP_1)
	v_fmac_f32_e32 v16, v17, v14
	v_fma_f32 v10, -v10, v16, v15
	s_delay_alu instid0(VALU_DEP_1) | instskip(NEXT) | instid1(VALU_DEP_1)
	v_div_fmas_f32 v10, v10, v14, v16
	v_div_fixup_f32 v5, v10, v9, v5
	s_delay_alu instid0(VALU_DEP_1) | instskip(NEXT) | instid1(VALU_DEP_1)
	v_minmax_num_f32 v5, v5, s5, 0xc3e00000
	v_and_b32_e32 v10, 0x7fffffff, v5
	s_delay_alu instid0(VALU_DEP_1)
	v_cmpx_gt_u32_e32 0x43f00000, v10
	s_cbranch_execz .LBB12_71
; %bb.169:                              ;   in Loop: Header=BB12_75 Depth=1
	s_mov_b32 s16, exec_lo
                                        ; implicit-def: $vgpr4
	v_cmpx_lt_u32_e32 0x3c7fffff, v10
	s_xor_b32 s16, exec_lo, s16
; %bb.170:                              ;   in Loop: Header=BB12_75 Depth=1
	v_bfe_u32 v4, v5, 20, 1
	s_delay_alu instid0(VALU_DEP_1) | instskip(NEXT) | instid1(VALU_DEP_1)
	v_add3_u32 v4, v5, v4, 0x407ffff
	v_lshrrev_b32_e32 v4, 20, v4
; %bb.171:                              ;   in Loop: Header=BB12_75 Depth=1
	s_and_not1_saveexec_b32 s16, s16
	s_cbranch_execz .LBB12_70
; %bb.172:                              ;   in Loop: Header=BB12_75 Depth=1
	v_add_f32_e64 v4, 0x46800000, |v5|
	s_branch .LBB12_70
.LBB12_173:
	s_endpgm
	.section	.rodata,"a",@progbits
	.p2align	6, 0x0
	.amdhsa_kernel _ZN4vllm39rms_norm_dynamic_per_token_quant_kernelIN3c108BFloat16ENS1_13Float8_e4m3fnELb1EEEvPT0_PfPKT_S9_PKffiPS7_
		.amdhsa_group_segment_fixed_size 272
		.amdhsa_private_segment_fixed_size 0
		.amdhsa_kernarg_size 312
		.amdhsa_user_sgpr_count 2
		.amdhsa_user_sgpr_dispatch_ptr 0
		.amdhsa_user_sgpr_queue_ptr 0
		.amdhsa_user_sgpr_kernarg_segment_ptr 1
		.amdhsa_user_sgpr_dispatch_id 0
		.amdhsa_user_sgpr_kernarg_preload_length 0
		.amdhsa_user_sgpr_kernarg_preload_offset 0
		.amdhsa_user_sgpr_private_segment_size 0
		.amdhsa_wavefront_size32 1
		.amdhsa_uses_dynamic_stack 0
		.amdhsa_enable_private_segment 0
		.amdhsa_system_sgpr_workgroup_id_x 1
		.amdhsa_system_sgpr_workgroup_id_y 0
		.amdhsa_system_sgpr_workgroup_id_z 0
		.amdhsa_system_sgpr_workgroup_info 0
		.amdhsa_system_vgpr_workitem_id 0
		.amdhsa_next_free_vgpr 24
		.amdhsa_next_free_sgpr 40
		.amdhsa_named_barrier_count 0
		.amdhsa_reserve_vcc 1
		.amdhsa_float_round_mode_32 0
		.amdhsa_float_round_mode_16_64 0
		.amdhsa_float_denorm_mode_32 3
		.amdhsa_float_denorm_mode_16_64 3
		.amdhsa_fp16_overflow 0
		.amdhsa_memory_ordered 1
		.amdhsa_forward_progress 1
		.amdhsa_inst_pref_size 126
		.amdhsa_round_robin_scheduling 0
		.amdhsa_exception_fp_ieee_invalid_op 0
		.amdhsa_exception_fp_denorm_src 0
		.amdhsa_exception_fp_ieee_div_zero 0
		.amdhsa_exception_fp_ieee_overflow 0
		.amdhsa_exception_fp_ieee_underflow 0
		.amdhsa_exception_fp_ieee_inexact 0
		.amdhsa_exception_int_div_zero 0
	.end_amdhsa_kernel
	.section	.text._ZN4vllm39rms_norm_dynamic_per_token_quant_kernelIN3c108BFloat16ENS1_13Float8_e4m3fnELb1EEEvPT0_PfPKT_S9_PKffiPS7_,"axG",@progbits,_ZN4vllm39rms_norm_dynamic_per_token_quant_kernelIN3c108BFloat16ENS1_13Float8_e4m3fnELb1EEEvPT0_PfPKT_S9_PKffiPS7_,comdat
.Lfunc_end12:
	.size	_ZN4vllm39rms_norm_dynamic_per_token_quant_kernelIN3c108BFloat16ENS1_13Float8_e4m3fnELb1EEEvPT0_PfPKT_S9_PKffiPS7_, .Lfunc_end12-_ZN4vllm39rms_norm_dynamic_per_token_quant_kernelIN3c108BFloat16ENS1_13Float8_e4m3fnELb1EEEvPT0_PfPKT_S9_PKffiPS7_
                                        ; -- End function
	.set _ZN4vllm39rms_norm_dynamic_per_token_quant_kernelIN3c108BFloat16ENS1_13Float8_e4m3fnELb1EEEvPT0_PfPKT_S9_PKffiPS7_.num_vgpr, 24
	.set _ZN4vllm39rms_norm_dynamic_per_token_quant_kernelIN3c108BFloat16ENS1_13Float8_e4m3fnELb1EEEvPT0_PfPKT_S9_PKffiPS7_.num_agpr, 0
	.set _ZN4vllm39rms_norm_dynamic_per_token_quant_kernelIN3c108BFloat16ENS1_13Float8_e4m3fnELb1EEEvPT0_PfPKT_S9_PKffiPS7_.numbered_sgpr, 40
	.set _ZN4vllm39rms_norm_dynamic_per_token_quant_kernelIN3c108BFloat16ENS1_13Float8_e4m3fnELb1EEEvPT0_PfPKT_S9_PKffiPS7_.num_named_barrier, 0
	.set _ZN4vllm39rms_norm_dynamic_per_token_quant_kernelIN3c108BFloat16ENS1_13Float8_e4m3fnELb1EEEvPT0_PfPKT_S9_PKffiPS7_.private_seg_size, 0
	.set _ZN4vllm39rms_norm_dynamic_per_token_quant_kernelIN3c108BFloat16ENS1_13Float8_e4m3fnELb1EEEvPT0_PfPKT_S9_PKffiPS7_.uses_vcc, 1
	.set _ZN4vllm39rms_norm_dynamic_per_token_quant_kernelIN3c108BFloat16ENS1_13Float8_e4m3fnELb1EEEvPT0_PfPKT_S9_PKffiPS7_.uses_flat_scratch, 0
	.set _ZN4vllm39rms_norm_dynamic_per_token_quant_kernelIN3c108BFloat16ENS1_13Float8_e4m3fnELb1EEEvPT0_PfPKT_S9_PKffiPS7_.has_dyn_sized_stack, 0
	.set _ZN4vllm39rms_norm_dynamic_per_token_quant_kernelIN3c108BFloat16ENS1_13Float8_e4m3fnELb1EEEvPT0_PfPKT_S9_PKffiPS7_.has_recursion, 0
	.set _ZN4vllm39rms_norm_dynamic_per_token_quant_kernelIN3c108BFloat16ENS1_13Float8_e4m3fnELb1EEEvPT0_PfPKT_S9_PKffiPS7_.has_indirect_call, 0
	.section	.AMDGPU.csdata,"",@progbits
; Kernel info:
; codeLenInByte = 16108
; TotalNumSgprs: 42
; NumVgprs: 24
; ScratchSize: 0
; MemoryBound: 0
; FloatMode: 240
; IeeeMode: 1
; LDSByteSize: 272 bytes/workgroup (compile time only)
; SGPRBlocks: 0
; VGPRBlocks: 1
; NumSGPRsForWavesPerEU: 42
; NumVGPRsForWavesPerEU: 24
; NamedBarCnt: 0
; Occupancy: 16
; WaveLimiterHint : 0
; COMPUTE_PGM_RSRC2:SCRATCH_EN: 0
; COMPUTE_PGM_RSRC2:USER_SGPR: 2
; COMPUTE_PGM_RSRC2:TRAP_HANDLER: 0
; COMPUTE_PGM_RSRC2:TGID_X_EN: 1
; COMPUTE_PGM_RSRC2:TGID_Y_EN: 0
; COMPUTE_PGM_RSRC2:TGID_Z_EN: 0
; COMPUTE_PGM_RSRC2:TIDIG_COMP_CNT: 0
	.section	.text._ZN4vllm39rms_norm_dynamic_per_token_quant_kernelIN3c108BFloat16ENS1_15Float8_e4m3fnuzELb1EEEvPT0_PfPKT_S9_PKffiPS7_,"axG",@progbits,_ZN4vllm39rms_norm_dynamic_per_token_quant_kernelIN3c108BFloat16ENS1_15Float8_e4m3fnuzELb1EEEvPT0_PfPKT_S9_PKffiPS7_,comdat
	.protected	_ZN4vllm39rms_norm_dynamic_per_token_quant_kernelIN3c108BFloat16ENS1_15Float8_e4m3fnuzELb1EEEvPT0_PfPKT_S9_PKffiPS7_ ; -- Begin function _ZN4vllm39rms_norm_dynamic_per_token_quant_kernelIN3c108BFloat16ENS1_15Float8_e4m3fnuzELb1EEEvPT0_PfPKT_S9_PKffiPS7_
	.globl	_ZN4vllm39rms_norm_dynamic_per_token_quant_kernelIN3c108BFloat16ENS1_15Float8_e4m3fnuzELb1EEEvPT0_PfPKT_S9_PKffiPS7_
	.p2align	8
	.type	_ZN4vllm39rms_norm_dynamic_per_token_quant_kernelIN3c108BFloat16ENS1_15Float8_e4m3fnuzELb1EEEvPT0_PfPKT_S9_PKffiPS7_,@function
_ZN4vllm39rms_norm_dynamic_per_token_quant_kernelIN3c108BFloat16ENS1_15Float8_e4m3fnuzELb1EEEvPT0_PfPKT_S9_PKffiPS7_: ; @_ZN4vllm39rms_norm_dynamic_per_token_quant_kernelIN3c108BFloat16ENS1_15Float8_e4m3fnuzELb1EEEvPT0_PfPKT_S9_PKffiPS7_
; %bb.0:
	s_clause 0x2
	s_load_b128 s[24:27], s[0:1], 0x20
	s_load_b256 s[16:23], s[0:1], 0x0
	s_load_b64 s[14:15], s[0:1], 0x30
	s_mov_b32 s31, 0
	s_getreg_b32 s33, hwreg(HW_REG_IB_STS2, 6, 4)
	s_add_nc_u64 s[34:35], s[0:1], 56
	s_wait_kmcnt 0x0
	s_and_b32 s2, s27, 3
	s_delay_alu instid0(SALU_CYCLE_1)
	s_cmp_lg_u32 s2, 0
	s_cbranch_scc0 .LBB13_35
; %bb.1:
	s_load_b32 s12, s[0:1], 0x38
	s_bfe_u32 s2, ttmp6, 0x4000c
	s_and_b32 s3, ttmp6, 15
	s_add_co_i32 s2, s2, 1
	v_mov_b32_e32 v1, 0
	s_mul_i32 s2, ttmp9, s2
	s_mov_b32 s4, s27
	s_add_co_i32 s3, s3, s2
	s_cmp_eq_u32 s33, 0
	v_cmp_gt_u32_e64 s2, s27, v0
	s_cselect_b32 s30, ttmp9, s3
	s_ashr_i32 s5, s27, 31
	s_delay_alu instid0(SALU_CYCLE_1)
	s_mul_u64 s[28:29], s[4:5], s[30:31]
	s_and_saveexec_b32 s3, s2
	s_cbranch_execz .LBB13_5
; %bb.2:
	s_wait_kmcnt 0x0
	s_cmp_lt_u32 s30, s12
	s_mov_b32 s5, 0
	s_cselect_b32 s4, 12, 18
	v_dual_mov_b32 v3, 0 :: v_dual_mov_b32 v1, 0
	s_add_nc_u64 s[6:7], s[34:35], s[4:5]
	v_mov_b32_e32 v2, v0
	s_load_u16 s4, s[6:7], 0x0
.LBB13_3:                               ; =>This Inner Loop Header: Depth=1
	s_delay_alu instid0(VALU_DEP_1) | instskip(NEXT) | instid1(VALU_DEP_1)
	v_add_nc_u64_e32 v[4:5], s[28:29], v[2:3]
	v_lshlrev_b64_e32 v[4:5], 1, v[4:5]
	s_delay_alu instid0(VALU_DEP_1)
	v_add_nc_u64_e32 v[6:7], s[20:21], v[4:5]
	v_add_nc_u64_e32 v[4:5], s[14:15], v[4:5]
	global_load_u16 v8, v[6:7], off
	global_load_u16 v9, v[4:5], off
	s_wait_loadcnt 0x0
	v_dual_lshlrev_b32 v4, 16, v8 :: v_dual_lshlrev_b32 v5, 16, v9
	s_wait_kmcnt 0x0
	s_delay_alu instid0(VALU_DEP_1) | instskip(NEXT) | instid1(VALU_DEP_1)
	v_dual_add_nc_u32 v2, s4, v2 :: v_dual_add_f32 v4, v5, v4
	v_cmp_le_u32_e32 vcc_lo, s27, v2
	s_delay_alu instid0(VALU_DEP_2) | instskip(SKIP_1) | instid1(SALU_CYCLE_1)
	v_fmac_f32_e32 v1, v4, v4
	s_or_b32 s5, vcc_lo, s5
	s_and_not1_b32 exec_lo, exec_lo, s5
	s_cbranch_execnz .LBB13_3
; %bb.4:
	s_or_b32 exec_lo, exec_lo, s5
.LBB13_5:
	s_delay_alu instid0(SALU_CYCLE_1) | instskip(SKIP_3) | instid1(VALU_DEP_2)
	s_or_b32 exec_lo, exec_lo, s3
	v_mbcnt_lo_u32_b32 v4, -1, 0
	s_load_b32 s3, s[34:35], 0xc
	v_and_b32_e32 v3, 0x3c0, v0
	v_cmp_ne_u32_e32 vcc_lo, 63, v4
	v_cmp_eq_u32_e64 s8, 0, v4
	v_dual_add_nc_u32 v5, 1, v4 :: v_dual_lshlrev_b32 v8, 2, v4
	v_add_co_ci_u32_e64 v2, null, 0, v4, vcc_lo
	v_cmp_gt_u32_e32 vcc_lo, 62, v4
	s_delay_alu instid0(VALU_DEP_2)
	v_lshlrev_b32_e32 v7, 2, v2
	v_cndmask_b32_e64 v6, 0, 2, vcc_lo
	v_cmp_gt_u32_e32 vcc_lo, 60, v4
	ds_bpermute_b32 v2, v7, v1
	s_wait_kmcnt 0x0
	s_and_b32 s36, s3, 0xffff
	v_add_lshl_u32 v9, v6, v4, 2
	v_sub_nc_u32_e64 v3, s36, v3 clamp
	v_add_nc_u32_e32 v6, 2, v4
	s_delay_alu instid0(VALU_DEP_2) | instskip(NEXT) | instid1(VALU_DEP_2)
	v_cmp_lt_u32_e64 s3, v5, v3
	v_cmp_lt_u32_e64 s4, v6, v3
	v_add_nc_u32_e32 v6, 4, v4
	v_cndmask_b32_e64 v5, 0, 4, vcc_lo
	v_cmp_gt_u32_e32 vcc_lo, 56, v4
	s_delay_alu instid0(VALU_DEP_3) | instskip(NEXT) | instid1(VALU_DEP_3)
	v_cmp_lt_u32_e64 s5, v6, v3
	v_add_lshl_u32 v10, v5, v4, 2
	v_cndmask_b32_e64 v5, 0, 8, vcc_lo
	v_cmp_gt_u32_e32 vcc_lo, 48, v4
	s_wait_dscnt 0x0
	v_dual_add_nc_u32 v6, 8, v4 :: v_dual_add_f32 v2, v1, v2
	s_delay_alu instid0(VALU_DEP_3) | instskip(SKIP_1) | instid1(VALU_DEP_3)
	v_add_lshl_u32 v11, v5, v4, 2
	v_cndmask_b32_e64 v5, 0, 16, vcc_lo
	v_cmp_lt_u32_e64 s6, v6, v3
	s_delay_alu instid0(VALU_DEP_4) | instskip(NEXT) | instid1(VALU_DEP_3)
	v_cndmask_b32_e64 v1, v1, v2, s3
	v_add_lshl_u32 v12, v5, v4, 2
	v_add_nc_u32_e32 v5, 16, v4
	ds_bpermute_b32 v2, v9, v1
	v_cmp_lt_u32_e64 s7, v5, v3
	v_or_b32_e32 v5, 32, v4
	s_delay_alu instid0(VALU_DEP_1) | instskip(SKIP_2) | instid1(VALU_DEP_1)
	v_cmp_lt_u32_e64 s10, v5, v3
	s_wait_dscnt 0x0
	v_add_f32_e32 v2, v1, v2
	v_cndmask_b32_e64 v1, v1, v2, s4
	ds_bpermute_b32 v2, v10, v1
	s_wait_dscnt 0x0
	v_add_f32_e32 v2, v1, v2
	s_delay_alu instid0(VALU_DEP_1) | instskip(SKIP_3) | instid1(VALU_DEP_1)
	v_cndmask_b32_e64 v1, v1, v2, s5
	ds_bpermute_b32 v2, v11, v1
	s_wait_dscnt 0x0
	v_add_f32_e32 v2, v1, v2
	v_cndmask_b32_e64 v1, v1, v2, s6
	ds_bpermute_b32 v2, v12, v1
	s_wait_dscnt 0x0
	v_add_f32_e32 v2, v1, v2
	s_delay_alu instid0(VALU_DEP_1) | instskip(SKIP_3) | instid1(VALU_DEP_1)
	v_cndmask_b32_e64 v1, v1, v2, s7
	ds_bpermute_b32 v2, v8, v1 offset:128
	s_wait_dscnt 0x0
	v_add_f32_e32 v2, v1, v2
	v_cndmask_b32_e64 v1, v1, v2, s10
	s_and_saveexec_b32 s9, s8
; %bb.6:
	v_lshrrev_b32_e32 v2, 4, v0
	s_delay_alu instid0(VALU_DEP_1)
	v_and_b32_e32 v2, 60, v2
	ds_store_b32 v2, v1 offset:128
; %bb.7:
	s_or_b32 exec_lo, exec_lo, s9
	v_cmp_gt_u32_e64 s9, 16, v0
	v_and_b32_e32 v5, 15, v4
	v_or_b32_e32 v6, 32, v8
	s_wait_dscnt 0x0
	s_barrier_signal -1
	s_barrier_wait -1
	s_and_saveexec_b32 s13, s9
	s_cbranch_execz .LBB13_9
; %bb.8:
	ds_load_b32 v1, v8 offset:128
	v_cmp_ne_u32_e32 vcc_lo, 15, v5
	s_add_co_i32 s11, s36, 63
	v_add_nc_u32_e32 v13, 1, v5
	s_lshr_b32 s37, s11, 6
	v_cmp_gt_u32_e64 s11, 12, v5
	v_add_co_ci_u32_e64 v2, null, 0, v4, vcc_lo
	v_cmp_gt_u32_e32 vcc_lo, 14, v5
	s_delay_alu instid0(VALU_DEP_3) | instskip(NEXT) | instid1(VALU_DEP_3)
	v_cndmask_b32_e64 v14, 0, 4, s11
	v_lshlrev_b32_e32 v2, 2, v2
	v_cndmask_b32_e64 v3, 0, 2, vcc_lo
	v_cmp_gt_u32_e32 vcc_lo, s37, v13
	v_add_nc_u32_e32 v13, 2, v5
	s_delay_alu instid0(VALU_DEP_3)
	v_add_lshl_u32 v3, v3, v4, 2
	s_wait_dscnt 0x0
	ds_bpermute_b32 v2, v2, v1
	v_cmp_gt_u32_e64 s11, s37, v13
	s_wait_dscnt 0x0
	v_dual_add_f32 v2, v1, v2 :: v_dual_add_nc_u32 v13, 4, v5
	s_delay_alu instid0(VALU_DEP_1) | instskip(SKIP_3) | instid1(VALU_DEP_1)
	v_cndmask_b32_e32 v2, v1, v2, vcc_lo
	ds_bpermute_b32 v3, v3, v2
	s_wait_dscnt 0x0
	v_add_f32_e32 v3, v2, v3
	v_cndmask_b32_e64 v2, v2, v3, s11
	v_add_lshl_u32 v3, v14, v4, 2
	v_cmp_gt_u32_e64 s11, s37, v13
	v_add_nc_u32_e32 v13, 8, v5
	ds_bpermute_b32 v3, v3, v2
	s_wait_dscnt 0x0
	v_add_f32_e32 v3, v2, v3
	s_delay_alu instid0(VALU_DEP_1) | instskip(SKIP_4) | instid1(VALU_DEP_1)
	v_cndmask_b32_e64 v2, v2, v3, s11
	v_cmp_gt_u32_e64 s11, s37, v13
	ds_bpermute_b32 v3, v6, v2
	s_wait_dscnt 0x0
	v_add_f32_e32 v3, v2, v3
	v_cndmask_b32_e64 v2, v2, v3, s11
	s_delay_alu instid0(VALU_DEP_1)
	v_cndmask_b32_e32 v1, v1, v2, vcc_lo
.LBB13_9:
	s_or_b32 exec_lo, exec_lo, s13
	v_cmp_eq_u32_e64 s11, 0, v0
	s_and_saveexec_b32 s13, s11
	s_cbranch_execz .LBB13_11
; %bb.10:
	s_cvt_f32_i32 s37, s27
	s_delay_alu instid0(SALU_CYCLE_3) | instskip(SKIP_1) | instid1(VALU_DEP_2)
	v_div_scale_f32 v2, null, s37, s37, v1
	v_div_scale_f32 v14, vcc_lo, v1, s37, v1
	v_rcp_f32_e32 v3, v2
	v_nop
	s_delay_alu instid0(TRANS32_DEP_1) | instskip(NEXT) | instid1(VALU_DEP_1)
	v_fma_f32 v13, -v2, v3, 1.0
	v_fmac_f32_e32 v3, v13, v3
	s_delay_alu instid0(VALU_DEP_1) | instskip(NEXT) | instid1(VALU_DEP_1)
	v_mul_f32_e32 v13, v14, v3
	v_fma_f32 v15, -v2, v13, v14
	s_delay_alu instid0(VALU_DEP_1) | instskip(NEXT) | instid1(VALU_DEP_1)
	v_fmac_f32_e32 v13, v15, v3
	v_fma_f32 v2, -v2, v13, v14
	s_delay_alu instid0(VALU_DEP_1) | instskip(NEXT) | instid1(VALU_DEP_1)
	v_div_fmas_f32 v2, v2, v3, v13
	v_div_fixup_f32 v1, v2, s37, v1
	s_delay_alu instid0(VALU_DEP_1) | instskip(NEXT) | instid1(VALU_DEP_1)
	v_add_f32_e32 v1, s26, v1
	v_mul_f32_e32 v2, 0x4b800000, v1
	v_cmp_gt_f32_e32 vcc_lo, 0x800000, v1
	s_delay_alu instid0(VALU_DEP_2) | instskip(NEXT) | instid1(VALU_DEP_1)
	v_cndmask_b32_e32 v1, v1, v2, vcc_lo
	v_rsq_f32_e32 v1, v1
	v_nop
	s_delay_alu instid0(TRANS32_DEP_1) | instskip(NEXT) | instid1(VALU_DEP_1)
	v_mul_f32_e32 v2, 0x45800000, v1
	v_dual_cndmask_b32 v1, v1, v2 :: v_dual_mov_b32 v2, 0
	ds_store_b32 v2, v1 offset:264
.LBB13_11:
	s_or_b32 exec_lo, exec_lo, s13
	v_mov_b32_e32 v13, 0
	s_wait_dscnt 0x0
	s_barrier_signal -1
	s_barrier_wait -1
	ds_load_b32 v1, v13 offset:264
	s_and_saveexec_b32 s37, s2
	s_cbranch_execz .LBB13_15
; %bb.12:
	s_cmp_lt_u32 s30, s12
	s_mov_b32 s13, 0
	s_cselect_b32 s12, 12, 18
	v_dual_mov_b32 v3, 0 :: v_dual_mov_b32 v13, 0
	s_add_nc_u64 s[38:39], s[34:35], s[12:13]
	v_mov_b32_e32 v2, v0
	s_load_u16 s38, s[38:39], 0x0
.LBB13_13:                              ; =>This Inner Loop Header: Depth=1
	s_delay_alu instid0(VALU_DEP_1) | instskip(NEXT) | instid1(VALU_DEP_1)
	v_add_nc_u64_e32 v[14:15], s[28:29], v[2:3]
	v_lshlrev_b64_e32 v[14:15], 1, v[14:15]
	s_delay_alu instid0(VALU_DEP_1)
	v_add_nc_u64_e32 v[16:17], s[20:21], v[14:15]
	v_add_nc_u64_e32 v[14:15], s[14:15], v[14:15]
	global_load_u16 v18, v[16:17], off
	global_load_u16 v19, v[14:15], off
	global_load_u16 v20, v2, s[22:23] scale_offset
	s_wait_loadcnt 0x1
	s_wait_xcnt 0x1
	v_dual_lshlrev_b32 v14, 16, v18 :: v_dual_lshlrev_b32 v15, 16, v19
	s_wait_loadcnt 0x0
	s_delay_alu instid0(VALU_DEP_1) | instskip(SKIP_1) | instid1(VALU_DEP_1)
	v_dual_lshlrev_b32 v16, 16, v20 :: v_dual_add_f32 v14, v15, v14
	s_wait_dscnt 0x0
	v_mul_f32_e32 v14, v1, v14
	s_delay_alu instid0(VALU_DEP_1) | instskip(SKIP_1) | instid1(VALU_DEP_2)
	v_bfe_u32 v15, v14, 16, 1
	v_cmp_o_f32_e32 vcc_lo, v14, v14
	v_add3_u32 v15, v14, v15, 0x7fff
	s_delay_alu instid0(VALU_DEP_1) | instskip(NEXT) | instid1(VALU_DEP_1)
	v_and_b32_e32 v15, 0xffff0000, v15
	v_cndmask_b32_e32 v14, 0x7fc00000, v15, vcc_lo
	s_delay_alu instid0(VALU_DEP_1) | instskip(NEXT) | instid1(VALU_DEP_1)
	v_dual_mul_f32 v14, v14, v16 :: v_dual_max_num_f32 v16, v13, v13
	v_bfe_u32 v15, v14, 16, 1
	v_cmp_u_f32_e64 s12, v14, v14
	s_delay_alu instid0(VALU_DEP_2) | instskip(NEXT) | instid1(VALU_DEP_1)
	v_add3_u32 v15, v14, v15, 0x7fff
	v_and_b32_e32 v15, 0xffff0000, v15
	s_delay_alu instid0(VALU_DEP_1) | instskip(SKIP_1) | instid1(VALU_DEP_1)
	v_max_num_f32_e64 v15, |v15|, |v15|
	s_wait_kmcnt 0x0
	v_dual_max_num_f32 v15, v16, v15 :: v_dual_add_nc_u32 v2, s38, v2
	s_delay_alu instid0(VALU_DEP_1) | instskip(NEXT) | instid1(VALU_DEP_2)
	v_cndmask_b32_e64 v13, v15, v13, s12
	v_cmp_le_u32_e32 vcc_lo, s27, v2
	s_or_b32 s13, vcc_lo, s13
	s_delay_alu instid0(SALU_CYCLE_1)
	s_and_not1_b32 exec_lo, exec_lo, s13
	s_cbranch_execnz .LBB13_13
; %bb.14:
	s_or_b32 exec_lo, exec_lo, s13
.LBB13_15:
	s_delay_alu instid0(SALU_CYCLE_1)
	s_or_b32 exec_lo, exec_lo, s37
	ds_bpermute_b32 v3, v7, v13
	v_or_b32_e32 v2, 0x80, v8
	s_wait_dscnt 0x0
	v_cmp_lt_f32_e32 vcc_lo, v13, v3
	v_cndmask_b32_e32 v3, v13, v3, vcc_lo
	s_delay_alu instid0(VALU_DEP_1) | instskip(SKIP_1) | instid1(SALU_CYCLE_1)
	v_cndmask_b32_e64 v3, v13, v3, s3
	s_or_b32 s3, s3, s4
	s_or_b32 s3, s5, s3
	s_delay_alu instid0(SALU_CYCLE_1)
	s_or_b32 s3, s6, s3
	ds_bpermute_b32 v7, v9, v3
	s_or_b32 s3, s7, s3
	s_wait_dscnt 0x0
	v_cmp_lt_f32_e32 vcc_lo, v3, v7
	v_cndmask_b32_e32 v7, v3, v7, vcc_lo
	s_delay_alu instid0(VALU_DEP_1) | instskip(SKIP_4) | instid1(VALU_DEP_1)
	v_cndmask_b32_e64 v3, v3, v7, s4
	ds_bpermute_b32 v7, v10, v3
	s_wait_dscnt 0x0
	v_cmp_lt_f32_e32 vcc_lo, v3, v7
	v_cndmask_b32_e32 v7, v3, v7, vcc_lo
	v_cndmask_b32_e64 v3, v3, v7, s5
	ds_bpermute_b32 v7, v11, v3
	s_wait_dscnt 0x0
	v_cmp_lt_f32_e32 vcc_lo, v3, v7
	v_cndmask_b32_e32 v7, v3, v7, vcc_lo
	s_delay_alu instid0(VALU_DEP_1) | instskip(SKIP_4) | instid1(VALU_DEP_1)
	v_cndmask_b32_e64 v3, v3, v7, s6
	ds_bpermute_b32 v7, v12, v3
	s_wait_dscnt 0x0
	v_cmp_lt_f32_e32 vcc_lo, v3, v7
	v_cndmask_b32_e32 v7, v3, v7, vcc_lo
	v_cndmask_b32_e64 v3, v3, v7, s7
	ds_bpermute_b32 v2, v2, v3
	s_wait_dscnt 0x0
	v_cmp_lt_f32_e32 vcc_lo, v3, v2
	s_and_b32 vcc_lo, s10, vcc_lo
	v_cndmask_b32_e32 v2, v3, v2, vcc_lo
	s_or_b32 vcc_lo, s10, s3
	s_delay_alu instid0(VALU_DEP_1)
	v_cndmask_b32_e32 v2, v13, v2, vcc_lo
	s_and_saveexec_b32 s3, s8
; %bb.16:
	v_lshrrev_b32_e32 v3, 4, v0
	s_delay_alu instid0(VALU_DEP_1)
	v_and_b32_e32 v3, 60, v3
	ds_store_b32 v3, v2 offset:192
; %bb.17:
	s_or_b32 exec_lo, exec_lo, s3
	s_wait_dscnt 0x0
	s_barrier_signal -1
	s_barrier_wait -1
	s_and_saveexec_b32 s5, s9
	s_cbranch_execz .LBB13_19
; %bb.18:
	ds_load_b32 v2, v8 offset:192
	v_cmp_ne_u32_e32 vcc_lo, 15, v5
	s_add_co_i32 s3, s36, 63
	v_add_nc_u32_e32 v7, 1, v5
	s_lshr_b32 s4, s3, 6
	v_cmp_gt_u32_e64 s3, 12, v5
	v_add_co_ci_u32_e64 v3, null, 0, v4, vcc_lo
	v_cmp_gt_u32_e32 vcc_lo, 14, v5
	s_delay_alu instid0(VALU_DEP_3) | instskip(NEXT) | instid1(VALU_DEP_3)
	v_cndmask_b32_e64 v9, 0, 4, s3
	v_lshlrev_b32_e32 v3, 2, v3
	v_cndmask_b32_e64 v8, 0, 2, vcc_lo
	s_delay_alu instid0(VALU_DEP_1) | instskip(NEXT) | instid1(VALU_DEP_4)
	v_add_lshl_u32 v8, v8, v4, 2
	v_add_lshl_u32 v4, v9, v4, 2
	s_wait_dscnt 0x0
	ds_bpermute_b32 v3, v3, v2
	s_wait_dscnt 0x0
	v_cmp_lt_f32_e32 vcc_lo, v2, v3
	v_cndmask_b32_e32 v3, v2, v3, vcc_lo
	v_cmp_gt_u32_e32 vcc_lo, s4, v7
	s_delay_alu instid0(VALU_DEP_2) | instskip(SKIP_4) | instid1(VALU_DEP_1)
	v_cndmask_b32_e32 v3, v2, v3, vcc_lo
	ds_bpermute_b32 v7, v8, v3
	v_add_nc_u32_e32 v8, 2, v5
	s_wait_dscnt 0x0
	v_cmp_lt_f32_e64 s3, v3, v7
	v_cndmask_b32_e64 v7, v3, v7, s3
	s_delay_alu instid0(VALU_DEP_3) | instskip(NEXT) | instid1(VALU_DEP_1)
	v_cmp_gt_u32_e64 s3, s4, v8
	v_dual_cndmask_b32 v3, v3, v7, s3 :: v_dual_add_nc_u32 v7, 4, v5
	v_add_nc_u32_e32 v5, 8, v5
	ds_bpermute_b32 v4, v4, v3
	s_wait_dscnt 0x0
	v_cmp_lt_f32_e64 s3, v3, v4
	s_delay_alu instid0(VALU_DEP_1) | instskip(SKIP_1) | instid1(VALU_DEP_1)
	v_cndmask_b32_e64 v4, v3, v4, s3
	v_cmp_gt_u32_e64 s3, s4, v7
	v_cndmask_b32_e64 v3, v3, v4, s3
	v_cmp_gt_u32_e64 s3, s4, v5
	ds_bpermute_b32 v4, v6, v3
	s_wait_dscnt 0x0
	v_cmp_lt_f32_e64 s4, v3, v4
	s_and_b32 s3, s3, s4
	s_delay_alu instid0(SALU_CYCLE_1) | instskip(NEXT) | instid1(VALU_DEP_1)
	v_cndmask_b32_e64 v3, v3, v4, s3
	v_cndmask_b32_e32 v2, v2, v3, vcc_lo
.LBB13_19:
	s_or_b32 exec_lo, exec_lo, s5
	s_and_saveexec_b32 s3, s11
	s_cbranch_execz .LBB13_23
; %bb.20:
	s_cmp_eq_u64 s[24:25], 0
	s_cbranch_scc1 .LBB13_22
; %bb.21:
	s_load_b32 s4, s[24:25], 0x0
	v_max_num_f32_e32 v2, v2, v2
	s_wait_kmcnt 0x0
	v_max_num_f32_e64 v3, s4, s4
	s_delay_alu instid0(VALU_DEP_1)
	v_min_num_f32_e32 v2, v2, v3
.LBB13_22:
	s_delay_alu instid0(VALU_DEP_1)
	v_div_scale_f32 v3, null, 0x43600000, 0x43600000, v2
	v_div_scale_f32 v6, vcc_lo, v2, 0x43600000, v2
	s_lshl_b64 s[4:5], s[30:31], 2
	v_rcp_f32_e32 v4, v3
	s_add_nc_u64 s[4:5], s[18:19], s[4:5]
	v_nop
	s_delay_alu instid0(TRANS32_DEP_1) | instskip(NEXT) | instid1(VALU_DEP_1)
	v_fma_f32 v5, -v3, v4, 1.0
	v_fmac_f32_e32 v4, v5, v4
	s_delay_alu instid0(VALU_DEP_1) | instskip(NEXT) | instid1(VALU_DEP_1)
	v_mul_f32_e32 v5, v6, v4
	v_fma_f32 v7, -v3, v5, v6
	s_delay_alu instid0(VALU_DEP_1) | instskip(NEXT) | instid1(VALU_DEP_1)
	v_fmac_f32_e32 v5, v7, v4
	v_fma_f32 v3, -v3, v5, v6
	s_delay_alu instid0(VALU_DEP_1) | instskip(NEXT) | instid1(VALU_DEP_1)
	v_div_fmas_f32 v3, v3, v4, v5
	v_div_fixup_f32 v2, v3, 0x43600000, v2
	s_delay_alu instid0(VALU_DEP_1)
	v_dual_mov_b32 v3, 0 :: v_dual_max_num_f32 v2, 0x37124925, v2
	ds_store_b32 v3, v2 offset:268
	global_store_b32 v3, v2, s[4:5]
.LBB13_23:
	s_wait_xcnt 0x0
	s_or_b32 exec_lo, exec_lo, s3
	s_wait_storecnt_dscnt 0x0
	s_barrier_signal -1
	s_barrier_wait -1
	s_and_saveexec_b32 s3, s2
	s_cbranch_execz .LBB13_34
; %bb.24:
	v_dual_mov_b32 v3, 0 :: v_dual_mov_b32 v2, v0
	s_mov_b32 s2, 0
	s_mov_b32 s4, 0x43600000
	ds_load_b32 v6, v3 offset:268
	s_branch .LBB13_27
.LBB13_25:                              ;   in Loop: Header=BB13_27 Depth=1
	s_or_b32 exec_lo, exec_lo, s7
.LBB13_26:                              ;   in Loop: Header=BB13_27 Depth=1
	s_delay_alu instid0(SALU_CYCLE_1) | instskip(SKIP_2) | instid1(VALU_DEP_2)
	s_or_b32 exec_lo, exec_lo, s5
	v_add_nc_u32_e32 v2, s36, v2
	v_add_nc_u64_e32 v[4:5], s[16:17], v[4:5]
	v_cmp_le_u32_e32 vcc_lo, s27, v2
	global_store_b8 v[4:5], v9, off
	s_or_b32 s2, vcc_lo, s2
	s_wait_xcnt 0x0
	s_and_not1_b32 exec_lo, exec_lo, s2
	s_cbranch_execz .LBB13_34
.LBB13_27:                              ; =>This Inner Loop Header: Depth=1
	v_add_nc_u64_e32 v[4:5], s[28:29], v[2:3]
	s_mov_b32 s5, exec_lo
	s_delay_alu instid0(VALU_DEP_1) | instskip(NEXT) | instid1(VALU_DEP_1)
	v_lshlrev_b64_e32 v[8:9], 1, v[4:5]
	v_add_nc_u64_e32 v[10:11], s[20:21], v[8:9]
	v_add_nc_u64_e32 v[12:13], s[14:15], v[8:9]
	global_load_u16 v7, v[10:11], off
	global_load_u16 v8, v[12:13], off
	global_load_u16 v9, v2, s[22:23] scale_offset
	s_wait_loadcnt 0x1
	v_dual_lshlrev_b32 v7, 16, v7 :: v_dual_lshlrev_b32 v8, 16, v8
	s_wait_loadcnt 0x0
	s_wait_xcnt 0x2
	s_delay_alu instid0(VALU_DEP_1) | instskip(NEXT) | instid1(VALU_DEP_1)
	v_dual_add_f32 v10, v8, v7 :: v_dual_lshlrev_b32 v9, 16, v9
	v_mul_f32_e32 v7, v1, v10
	s_delay_alu instid0(VALU_DEP_1) | instskip(SKIP_1) | instid1(VALU_DEP_2)
	v_bfe_u32 v8, v7, 16, 1
	v_cmp_o_f32_e32 vcc_lo, v7, v7
	v_add3_u32 v8, v7, v8, 0x7fff
	s_delay_alu instid0(VALU_DEP_1) | instskip(NEXT) | instid1(VALU_DEP_1)
	v_and_b32_e32 v8, 0xffff0000, v8
	v_cndmask_b32_e32 v7, 0x7fc00000, v8, vcc_lo
	s_delay_alu instid0(VALU_DEP_1) | instskip(NEXT) | instid1(VALU_DEP_1)
	v_mul_f32_e32 v7, v7, v9
	v_bfe_u32 v8, v7, 16, 1
	v_cmp_o_f32_e32 vcc_lo, v7, v7
	s_delay_alu instid0(VALU_DEP_2) | instskip(NEXT) | instid1(VALU_DEP_1)
	v_add3_u32 v8, v7, v8, 0x7fff
	v_and_b32_e32 v8, 0xffff0000, v8
	s_delay_alu instid0(VALU_DEP_1) | instskip(SKIP_1) | instid1(VALU_DEP_1)
	v_cndmask_b32_e32 v7, 0x7fc00000, v8, vcc_lo
	s_wait_dscnt 0x0
	v_div_scale_f32 v8, null, v6, v6, v7
	v_div_scale_f32 v14, vcc_lo, v7, v6, v7
	s_delay_alu instid0(VALU_DEP_2) | instskip(SKIP_1) | instid1(TRANS32_DEP_1)
	v_rcp_f32_e32 v9, v8
	v_nop
	v_fma_f32 v11, -v8, v9, 1.0
	s_delay_alu instid0(VALU_DEP_1) | instskip(NEXT) | instid1(VALU_DEP_1)
	v_fmac_f32_e32 v9, v11, v9
	v_mul_f32_e32 v11, v14, v9
	s_delay_alu instid0(VALU_DEP_1) | instskip(NEXT) | instid1(VALU_DEP_1)
	v_fma_f32 v15, -v8, v11, v14
	v_fmac_f32_e32 v11, v15, v9
	s_delay_alu instid0(VALU_DEP_1) | instskip(NEXT) | instid1(VALU_DEP_1)
	v_fma_f32 v8, -v8, v11, v14
	v_div_fmas_f32 v8, v8, v9, v11
	v_bfe_u32 v9, v10, 16, 1
	v_cmp_o_f32_e32 vcc_lo, v10, v10
	s_delay_alu instid0(VALU_DEP_3) | instskip(NEXT) | instid1(VALU_DEP_3)
	v_div_fixup_f32 v7, v8, v6, v7
	v_add3_u32 v8, v10, v9, 0x7fff
	s_delay_alu instid0(VALU_DEP_2) | instskip(NEXT) | instid1(VALU_DEP_2)
	v_minmax_num_f32 v7, v7, s4, 0xc3600000
	v_lshrrev_b32_e32 v9, 16, v8
	s_delay_alu instid0(VALU_DEP_2) | instskip(NEXT) | instid1(VALU_DEP_2)
	v_and_b32_e32 v8, 0x7fffffff, v7
	v_cndmask_b32_e32 v10, 0x7fc0, v9, vcc_lo
	v_mov_b32_e32 v9, 0x80
	global_store_b16 v[12:13], v10, off
	s_wait_xcnt 0x0
	v_cmpx_gt_u32_e32 0x43800000, v8
	s_cbranch_execz .LBB13_26
; %bb.28:                               ;   in Loop: Header=BB13_27 Depth=1
	v_cmp_lt_u32_e32 vcc_lo, 0x3bffffff, v8
	s_mov_b32 s6, 0
                                        ; implicit-def: $vgpr8
	s_and_saveexec_b32 s7, vcc_lo
	s_delay_alu instid0(SALU_CYCLE_1)
	s_xor_b32 s7, exec_lo, s7
	s_cbranch_execnz .LBB13_31
; %bb.29:                               ;   in Loop: Header=BB13_27 Depth=1
	s_and_not1_saveexec_b32 s7, s7
	s_cbranch_execnz .LBB13_32
.LBB13_30:                              ;   in Loop: Header=BB13_27 Depth=1
	s_or_b32 exec_lo, exec_lo, s7
	v_mov_b32_e32 v9, 0
	s_and_saveexec_b32 s7, s6
	s_cbranch_execz .LBB13_25
	s_branch .LBB13_33
.LBB13_31:                              ;   in Loop: Header=BB13_27 Depth=1
	v_bfe_u32 v8, v7, 20, 1
	s_mov_b32 s6, exec_lo
	s_delay_alu instid0(VALU_DEP_1) | instskip(NEXT) | instid1(VALU_DEP_1)
	v_add3_u32 v8, v7, v8, 0x487ffff
	v_lshrrev_b32_e32 v8, 20, v8
	s_and_not1_saveexec_b32 s7, s7
	s_cbranch_execz .LBB13_30
.LBB13_32:                              ;   in Loop: Header=BB13_27 Depth=1
	v_add_f32_e64 v8, 0x46000000, |v7|
	s_and_not1_b32 s6, s6, exec_lo
	s_delay_alu instid0(VALU_DEP_1) | instskip(NEXT) | instid1(VALU_DEP_1)
	v_and_b32_e32 v8, 0xff, v8
	v_cmp_ne_u32_e32 vcc_lo, 0, v8
	s_and_b32 s8, vcc_lo, exec_lo
	s_delay_alu instid0(SALU_CYCLE_1)
	s_or_b32 s6, s6, s8
	s_or_b32 exec_lo, exec_lo, s7
	v_mov_b32_e32 v9, 0
	s_and_saveexec_b32 s7, s6
	s_cbranch_execz .LBB13_25
.LBB13_33:                              ;   in Loop: Header=BB13_27 Depth=1
	v_lshrrev_b32_e32 v7, 24, v7
	s_delay_alu instid0(VALU_DEP_1)
	v_and_or_b32 v9, 0x80, v7, v8
	s_branch .LBB13_25
.LBB13_34:
	s_or_b32 exec_lo, exec_lo, s3
	s_branch .LBB13_207
.LBB13_35:
	s_cbranch_execz .LBB13_207
; %bb.36:
	s_load_b32 s1, s[0:1], 0x38
	s_bfe_u32 s2, ttmp6, 0x4000c
	s_wait_xcnt 0x0
	s_and_b32 s0, ttmp6, 15
	s_add_co_i32 s2, s2, 1
	s_mov_b32 s31, 0
	s_mul_i32 s2, ttmp9, s2
	v_mov_b32_e32 v2, 0
	s_add_co_i32 s0, s0, s2
	s_cmp_eq_u32 s33, 0
	s_mov_b32 s2, s27
	s_cselect_b32 s30, ttmp9, s0
	s_ashr_i32 s3, s27, 31
	s_ashr_i32 s11, s27, 2
	s_mul_u64 s[28:29], s[2:3], s[30:31]
	v_cmp_gt_u32_e64 s0, s11, v0
	s_lshl_b64 s[2:3], s[28:29], 1
	s_delay_alu instid0(SALU_CYCLE_1)
	s_add_nc_u64 s[12:13], s[20:21], s[2:3]
	s_add_nc_u64 s[14:15], s[14:15], s[2:3]
	s_and_saveexec_b32 s2, s0
	s_cbranch_execz .LBB13_46
; %bb.37:
	s_wait_kmcnt 0x0
	s_cmp_lt_u32 s30, s1
	s_mov_b32 s5, s31
	s_cselect_b32 s4, 12, 18
	v_dual_mov_b32 v2, 0 :: v_dual_mov_b32 v1, v0
	s_add_nc_u64 s[4:5], s[34:35], s[4:5]
	s_mov_b32 s6, s31
	s_load_u16 s3, s[4:5], 0x0
                                        ; implicit-def: $sgpr8
	s_wait_kmcnt 0x0
	s_lshl_b32 s4, s3, 1
	s_mul_i32 s5, s3, 3
	s_add_co_i32 s7, s3, s3
	s_branch .LBB13_41
.LBB13_38:                              ;   in Loop: Header=BB13_41 Depth=1
	s_or_b32 exec_lo, exec_lo, s20
	s_delay_alu instid0(SALU_CYCLE_1)
	s_or_not1_b32 s20, s21, exec_lo
.LBB13_39:                              ;   in Loop: Header=BB13_41 Depth=1
	s_or_b32 exec_lo, exec_lo, s10
	s_delay_alu instid0(SALU_CYCLE_1) | instskip(SKIP_1) | instid1(SALU_CYCLE_1)
	s_and_not1_b32 s8, s8, exec_lo
	s_and_b32 s10, s20, exec_lo
	s_or_b32 s8, s8, s10
.LBB13_40:                              ;   in Loop: Header=BB13_41 Depth=1
	s_or_b32 exec_lo, exec_lo, s9
	s_delay_alu instid0(SALU_CYCLE_1) | instskip(NEXT) | instid1(SALU_CYCLE_1)
	s_and_b32 s9, exec_lo, s8
	s_or_b32 s6, s9, s6
	s_delay_alu instid0(SALU_CYCLE_1)
	s_and_not1_b32 exec_lo, exec_lo, s6
	s_cbranch_execz .LBB13_45
.LBB13_41:                              ; =>This Inner Loop Header: Depth=1
	s_clause 0x1
	global_load_b64 v[4:5], v1, s[12:13] scale_offset
	global_load_b64 v[6:7], v1, s[14:15] scale_offset
	s_or_b32 s8, s8, exec_lo
	s_mov_b32 s9, exec_lo
	s_wait_loadcnt 0x0
	v_dual_lshlrev_b32 v3, 16, v4 :: v_dual_lshlrev_b32 v8, 16, v6
	v_and_b32_e32 v9, 0xffff0000, v4
	v_alignbit_b32 v4, v5, v4, 16
	v_and_b32_e32 v10, 0xffff0000, v6
	v_alignbit_b32 v6, v7, v6, 16
	v_add_f32_e32 v3, v3, v8
	s_delay_alu instid0(VALU_DEP_4) | instskip(NEXT) | instid1(VALU_DEP_4)
	v_and_b32_e32 v4, 0xffff0000, v4
	v_add_f32_e32 v8, v9, v10
	s_delay_alu instid0(VALU_DEP_4) | instskip(NEXT) | instid1(VALU_DEP_4)
	v_and_b32_e32 v6, 0xffff0000, v6
	v_fmac_f32_e32 v2, v3, v3
	v_and_b32_e32 v3, 0xffff0000, v5
	v_and_b32_e32 v5, 0xffff0000, v7
	s_delay_alu instid0(VALU_DEP_4) | instskip(NEXT) | instid1(VALU_DEP_2)
	v_add_f32_e32 v4, v4, v6
	v_dual_fmac_f32 v2, v8, v8 :: v_dual_add_f32 v5, v3, v5
	s_delay_alu instid0(VALU_DEP_1) | instskip(NEXT) | instid1(VALU_DEP_1)
	v_dual_fmac_f32 v2, v4, v4 :: v_dual_add_nc_u32 v3, s3, v1
	v_fmac_f32_e32 v2, v5, v5
	s_wait_xcnt 0x0
	s_delay_alu instid0(VALU_DEP_2)
	v_cmpx_gt_u32_e64 s11, v3
	s_cbranch_execz .LBB13_40
; %bb.42:                               ;   in Loop: Header=BB13_41 Depth=1
	s_clause 0x1
	global_load_b64 v[4:5], v3, s[12:13] scale_offset
	global_load_b64 v[6:7], v3, s[14:15] scale_offset
	s_mov_b32 s20, -1
	s_mov_b32 s10, exec_lo
	s_wait_loadcnt 0x0
	v_dual_lshlrev_b32 v8, 16, v4 :: v_dual_lshlrev_b32 v9, 16, v6
	v_and_b32_e32 v10, 0xffff0000, v4
	v_alignbit_b32 v4, v5, v4, 16
	v_and_b32_e32 v11, 0xffff0000, v6
	v_alignbit_b32 v6, v7, v6, 16
	v_add_f32_e32 v8, v8, v9
	v_and_b32_e32 v5, 0xffff0000, v5
	v_and_b32_e32 v4, 0xffff0000, v4
	v_add_f32_e32 v9, v10, v11
	v_and_b32_e32 v6, 0xffff0000, v6
	v_and_b32_e32 v7, 0xffff0000, v7
	s_delay_alu instid0(VALU_DEP_1) | instskip(NEXT) | instid1(VALU_DEP_1)
	v_dual_fmac_f32 v2, v8, v8 :: v_dual_add_f32 v5, v5, v7
	v_dual_add_f32 v4, v4, v6 :: v_dual_fmac_f32 v2, v9, v9
	s_delay_alu instid0(VALU_DEP_1) | instskip(NEXT) | instid1(VALU_DEP_1)
	v_dual_fmac_f32 v2, v4, v4 :: v_dual_add_nc_u32 v4, s4, v1
	v_fmac_f32_e32 v2, v5, v5
	s_wait_xcnt 0x0
	s_delay_alu instid0(VALU_DEP_2)
	v_cmpx_gt_u32_e64 s11, v4
	s_cbranch_execz .LBB13_39
; %bb.43:                               ;   in Loop: Header=BB13_41 Depth=1
	s_clause 0x1
	global_load_b64 v[6:7], v4, s[12:13] scale_offset
	global_load_b64 v[8:9], v4, s[14:15] scale_offset
	s_mov_b32 s21, -1
	s_mov_b32 s20, exec_lo
	s_wait_loadcnt 0x0
	v_dual_lshlrev_b32 v4, 16, v6 :: v_dual_lshlrev_b32 v5, 16, v8
	v_and_b32_e32 v10, 0xffff0000, v6
	v_alignbit_b32 v6, v7, v6, 16
	v_and_b32_e32 v11, 0xffff0000, v8
	v_alignbit_b32 v8, v9, v8, 16
	v_add_f32_e32 v4, v4, v5
	s_delay_alu instid0(VALU_DEP_4) | instskip(NEXT) | instid1(VALU_DEP_4)
	v_and_b32_e32 v5, 0xffff0000, v6
	v_add_f32_e32 v6, v10, v11
	s_delay_alu instid0(VALU_DEP_4) | instskip(NEXT) | instid1(VALU_DEP_4)
	v_and_b32_e32 v8, 0xffff0000, v8
	v_fmac_f32_e32 v2, v4, v4
	v_and_b32_e32 v4, 0xffff0000, v7
	v_and_b32_e32 v7, 0xffff0000, v9
	s_delay_alu instid0(VALU_DEP_3) | instskip(NEXT) | instid1(VALU_DEP_1)
	v_dual_add_f32 v5, v5, v8 :: v_dual_fmac_f32 v2, v6, v6
	v_dual_add_f32 v6, v4, v7 :: v_dual_fmac_f32 v2, v5, v5
	v_add_nc_u32_e32 v4, s5, v1
                                        ; implicit-def: $vgpr1
	s_delay_alu instid0(VALU_DEP_2) | instskip(NEXT) | instid1(VALU_DEP_2)
	v_fmac_f32_e32 v2, v6, v6
	v_cmpx_gt_u32_e64 s11, v4
	s_xor_b32 s20, exec_lo, s20
	s_cbranch_execz .LBB13_38
; %bb.44:                               ;   in Loop: Header=BB13_41 Depth=1
	s_clause 0x1
	global_load_b64 v[6:7], v4, s[12:13] scale_offset
	global_load_b64 v[8:9], v4, s[14:15] scale_offset
	s_wait_loadcnt 0x0
	v_dual_lshlrev_b32 v1, 16, v6 :: v_dual_lshlrev_b32 v4, 16, v8
	v_and_b32_e32 v5, 0xffff0000, v6
	v_alignbit_b32 v6, v7, v6, 16
	v_alignbit_b32 v10, v9, v8, 16
	v_and_b32_e32 v8, 0xffff0000, v8
	v_add_f32_e32 v1, v1, v4
	v_and_b32_e32 v7, 0xffff0000, v7
	v_and_b32_e32 v4, 0xffff0000, v6
	;; [unrolled: 1-line block ×3, first 2 shown]
	s_delay_alu instid0(VALU_DEP_1) | instskip(SKIP_3) | instid1(VALU_DEP_2)
	v_dual_add_f32 v4, v4, v6 :: v_dual_fmac_f32 v2, v1, v1
	v_and_b32_e32 v6, 0xffff0000, v9
	v_add_f32_e32 v5, v5, v8
	v_add3_u32 v1, s7, s3, v3
	v_dual_add_f32 v3, v7, v6 :: v_dual_fmac_f32 v2, v5, v5
	s_delay_alu instid0(VALU_DEP_2) | instskip(NEXT) | instid1(VALU_DEP_2)
	v_cmp_le_u32_e32 vcc_lo, s11, v1
	v_fmac_f32_e32 v2, v4, v4
	s_or_not1_b32 s21, vcc_lo, exec_lo
	s_delay_alu instid0(VALU_DEP_1)
	v_fmac_f32_e32 v2, v3, v3
	s_branch .LBB13_38
.LBB13_45:
	s_or_b32 exec_lo, exec_lo, s6
.LBB13_46:
	s_delay_alu instid0(SALU_CYCLE_1)
	s_or_b32 exec_lo, exec_lo, s2
	v_mbcnt_lo_u32_b32 v1, -1, 0
	s_wait_kmcnt 0x0
	s_cmp_lt_u32 s30, s1
	s_mov_b32 s3, 0
	s_cselect_b32 s2, 12, 18
	v_and_b32_e32 v5, 0x3c0, v0
	v_cmp_ne_u32_e32 vcc_lo, 63, v1
	s_add_nc_u64 s[2:3], s[34:35], s[2:3]
	v_cmp_eq_u32_e64 s6, 0, v1
	s_load_u16 s20, s[2:3], 0x0
	v_add_nc_u32_e32 v6, 1, v1
	v_add_co_ci_u32_e64 v3, null, 0, v1, vcc_lo
	v_cmp_gt_u32_e32 vcc_lo, 62, v1
	s_delay_alu instid0(VALU_DEP_2)
	v_lshlrev_b32_e32 v3, 2, v3
	v_cndmask_b32_e64 v7, 0, 2, vcc_lo
	v_cmp_gt_u32_e32 vcc_lo, 60, v1
	ds_bpermute_b32 v4, v3, v2
	s_wait_kmcnt 0x0
	v_sub_nc_u32_e64 v8, s20, v5 clamp
	s_delay_alu instid0(VALU_DEP_1)
	v_cmp_lt_u32_e64 s1, v6, v8
	v_cndmask_b32_e64 v6, 0, 4, vcc_lo
	v_cmp_gt_u32_e32 vcc_lo, 56, v1
	s_wait_dscnt 0x0
	v_add_f32_e32 v5, v2, v4
	v_add_lshl_u32 v4, v7, v1, 2
	v_add_nc_u32_e32 v7, 2, v1
	s_delay_alu instid0(VALU_DEP_3) | instskip(NEXT) | instid1(VALU_DEP_2)
	v_cndmask_b32_e64 v2, v2, v5, s1
	v_cmp_lt_u32_e64 s2, v7, v8
	v_cndmask_b32_e64 v7, 0, 8, vcc_lo
	v_cmp_gt_u32_e32 vcc_lo, 48, v1
	ds_bpermute_b32 v5, v4, v2
	s_wait_dscnt 0x0
	v_add_f32_e32 v9, v2, v5
	v_add_lshl_u32 v5, v6, v1, 2
	s_delay_alu instid0(VALU_DEP_2) | instskip(SKIP_4) | instid1(VALU_DEP_2)
	v_cndmask_b32_e64 v2, v2, v9, s2
	ds_bpermute_b32 v6, v5, v2
	s_wait_dscnt 0x0
	v_dual_add_f32 v10, v2, v6 :: v_dual_add_nc_u32 v9, 4, v1
	v_add_lshl_u32 v6, v7, v1, 2
	v_cmp_lt_u32_e64 s3, v9, v8
	v_cndmask_b32_e64 v9, 0, 16, vcc_lo
	s_delay_alu instid0(VALU_DEP_2) | instskip(SKIP_3) | instid1(VALU_DEP_1)
	v_cndmask_b32_e64 v2, v2, v10, s3
	ds_bpermute_b32 v7, v6, v2
	s_wait_dscnt 0x0
	v_dual_add_f32 v11, v2, v7 :: v_dual_add_nc_u32 v10, 8, v1
	v_cmp_lt_u32_e64 s4, v10, v8
	v_add_lshl_u32 v7, v9, v1, 2
	s_delay_alu instid0(VALU_DEP_2) | instskip(NEXT) | instid1(VALU_DEP_1)
	v_dual_add_nc_u32 v10, 16, v1 :: v_dual_cndmask_b32 v9, v2, v11, s4
	v_cmp_lt_u32_e64 s5, v10, v8
	ds_bpermute_b32 v2, v7, v9
	s_wait_dscnt 0x0
	v_dual_add_f32 v11, v9, v2 :: v_dual_lshlrev_b32 v2, 2, v1
	s_delay_alu instid0(VALU_DEP_1) | instskip(SKIP_3) | instid1(VALU_DEP_1)
	v_cndmask_b32_e64 v9, v9, v11, s5
	ds_bpermute_b32 v10, v2, v9 offset:128
	s_wait_dscnt 0x0
	v_dual_add_f32 v10, v9, v10 :: v_dual_bitop2_b32 v11, 32, v1 bitop3:0x54
	v_cmp_lt_u32_e64 s8, v11, v8
	s_delay_alu instid0(VALU_DEP_1)
	v_cndmask_b32_e64 v8, v9, v10, s8
	s_and_saveexec_b32 s7, s6
; %bb.47:
	v_lshrrev_b32_e32 v9, 4, v0
	s_delay_alu instid0(VALU_DEP_1)
	v_and_b32_e32 v9, 60, v9
	ds_store_b32 v9, v8
; %bb.48:
	s_or_b32 exec_lo, exec_lo, s7
	v_cmp_gt_u32_e64 s7, 16, v0
	s_wait_storecnt_dscnt 0x0
	s_barrier_signal -1
	s_barrier_wait -1
	s_and_saveexec_b32 s10, s7
	s_cbranch_execz .LBB13_50
; %bb.49:
	ds_load_b32 v8, v2
	v_and_b32_e32 v9, 15, v1
	s_add_co_i32 s9, s20, 63
	s_delay_alu instid0(SALU_CYCLE_1) | instskip(NEXT) | instid1(VALU_DEP_1)
	s_lshr_b32 s21, s9, 6
	v_cmp_ne_u32_e32 vcc_lo, 15, v9
	v_add_co_ci_u32_e64 v10, null, 0, v1, vcc_lo
	s_delay_alu instid0(VALU_DEP_1)
	v_lshlrev_b32_e32 v10, 2, v10
	v_cmp_gt_u32_e32 vcc_lo, 14, v9
	v_cmp_gt_u32_e64 s9, 12, v9
	v_add_nc_u32_e32 v13, 2, v9
	s_wait_dscnt 0x0
	ds_bpermute_b32 v10, v10, v8
	v_add_nc_u32_e32 v12, 1, v9
	v_cndmask_b32_e64 v11, 0, 2, vcc_lo
	s_delay_alu instid0(VALU_DEP_1)
	v_add_lshl_u32 v11, v11, v1, 2
	s_wait_dscnt 0x0
	v_add_f32_e32 v10, v8, v10
	v_cmp_gt_u32_e32 vcc_lo, s21, v12
	v_cndmask_b32_e64 v12, 0, 4, s9
	v_cmp_gt_u32_e64 s9, s21, v13
	s_delay_alu instid0(VALU_DEP_4) | instskip(NEXT) | instid1(VALU_DEP_3)
	v_cndmask_b32_e32 v10, v8, v10, vcc_lo
	v_add_lshl_u32 v12, v12, v1, 2
	ds_bpermute_b32 v11, v11, v10
	s_wait_dscnt 0x0
	v_add_f32_e32 v11, v10, v11
	s_delay_alu instid0(VALU_DEP_1) | instskip(SKIP_2) | instid1(VALU_DEP_1)
	v_cndmask_b32_e64 v10, v10, v11, s9
	ds_bpermute_b32 v11, v12, v10
	v_dual_add_nc_u32 v12, 4, v9 :: v_dual_add_nc_u32 v9, 8, v9
	v_cmp_gt_u32_e64 s9, s21, v12
	s_wait_dscnt 0x0
	v_add_f32_e32 v11, v10, v11
	s_delay_alu instid0(VALU_DEP_1) | instskip(SKIP_4) | instid1(VALU_DEP_1)
	v_dual_cndmask_b32 v10, v10, v11, s9 :: v_dual_bitop2_b32 v11, 32, v2 bitop3:0x54
	v_cmp_gt_u32_e64 s9, s21, v9
	ds_bpermute_b32 v11, v11, v10
	s_wait_dscnt 0x0
	v_add_f32_e32 v11, v10, v11
	v_cndmask_b32_e64 v9, v10, v11, s9
	s_delay_alu instid0(VALU_DEP_1)
	v_cndmask_b32_e32 v8, v8, v9, vcc_lo
.LBB13_50:
	s_or_b32 exec_lo, exec_lo, s10
	v_cmp_eq_u32_e64 s9, 0, v0
	s_and_saveexec_b32 s10, s9
	s_cbranch_execz .LBB13_52
; %bb.51:
	s_cvt_f32_i32 s21, s27
	s_delay_alu instid0(SALU_CYCLE_3) | instskip(SKIP_1) | instid1(VALU_DEP_2)
	v_div_scale_f32 v9, null, s21, s21, v8
	v_div_scale_f32 v12, vcc_lo, v8, s21, v8
	v_rcp_f32_e32 v10, v9
	v_nop
	s_delay_alu instid0(TRANS32_DEP_1) | instskip(NEXT) | instid1(VALU_DEP_1)
	v_fma_f32 v11, -v9, v10, 1.0
	v_fmac_f32_e32 v10, v11, v10
	s_delay_alu instid0(VALU_DEP_1) | instskip(NEXT) | instid1(VALU_DEP_1)
	v_mul_f32_e32 v11, v12, v10
	v_fma_f32 v13, -v9, v11, v12
	s_delay_alu instid0(VALU_DEP_1) | instskip(NEXT) | instid1(VALU_DEP_1)
	v_fmac_f32_e32 v11, v13, v10
	v_fma_f32 v9, -v9, v11, v12
	s_delay_alu instid0(VALU_DEP_1) | instskip(NEXT) | instid1(VALU_DEP_1)
	v_div_fmas_f32 v9, v9, v10, v11
	v_div_fixup_f32 v8, v9, s21, v8
	s_delay_alu instid0(VALU_DEP_1) | instskip(NEXT) | instid1(VALU_DEP_1)
	v_add_f32_e32 v8, s26, v8
	v_mul_f32_e32 v9, 0x4b800000, v8
	v_cmp_gt_f32_e32 vcc_lo, 0x800000, v8
	s_delay_alu instid0(VALU_DEP_2) | instskip(NEXT) | instid1(VALU_DEP_1)
	v_cndmask_b32_e32 v8, v8, v9, vcc_lo
	v_rsq_f32_e32 v8, v8
	v_nop
	s_delay_alu instid0(TRANS32_DEP_1) | instskip(NEXT) | instid1(VALU_DEP_1)
	v_mul_f32_e32 v9, 0x45800000, v8
	v_dual_cndmask_b32 v8, v8, v9 :: v_dual_mov_b32 v9, 0
	ds_store_b32 v9, v8 offset:256
.LBB13_52:
	s_or_b32 exec_lo, exec_lo, s10
	v_mov_b32_e32 v9, 0
	s_wait_dscnt 0x0
	s_barrier_signal -1
	s_barrier_wait -1
	ds_load_b32 v8, v9 offset:256
	s_and_saveexec_b32 s21, s0
	s_cbranch_execz .LBB13_62
; %bb.53:
	v_dual_mov_b32 v9, 0 :: v_dual_mov_b32 v10, v0
	s_lshl_b32 s26, s20, 1
	s_mul_i32 s33, s20, 3
	s_mov_b32 s27, 0
	s_add_co_i32 s34, s20, s20
                                        ; implicit-def: $sgpr35
	s_branch .LBB13_57
.LBB13_54:                              ;   in Loop: Header=BB13_57 Depth=1
	s_or_b32 exec_lo, exec_lo, s38
	s_delay_alu instid0(SALU_CYCLE_1)
	s_or_not1_b32 s10, s10, exec_lo
.LBB13_55:                              ;   in Loop: Header=BB13_57 Depth=1
	s_or_b32 exec_lo, exec_lo, s37
	s_delay_alu instid0(SALU_CYCLE_1) | instskip(SKIP_1) | instid1(SALU_CYCLE_1)
	s_and_not1_b32 s35, s35, exec_lo
	s_and_b32 s10, s10, exec_lo
	s_or_b32 s35, s35, s10
.LBB13_56:                              ;   in Loop: Header=BB13_57 Depth=1
	s_or_b32 exec_lo, exec_lo, s36
	s_delay_alu instid0(SALU_CYCLE_1) | instskip(NEXT) | instid1(SALU_CYCLE_1)
	s_and_b32 s10, exec_lo, s35
	s_or_b32 s27, s10, s27
	s_delay_alu instid0(SALU_CYCLE_1)
	s_and_not1_b32 exec_lo, exec_lo, s27
	s_cbranch_execz .LBB13_61
.LBB13_57:                              ; =>This Inner Loop Header: Depth=1
	s_clause 0x2
	global_load_b64 v[12:13], v10, s[12:13] scale_offset
	global_load_b64 v[14:15], v10, s[14:15] scale_offset
	;; [unrolled: 1-line block ×3, first 2 shown]
	s_or_b32 s35, s35, exec_lo
	s_mov_b32 s36, exec_lo
	s_wait_loadcnt 0x1
	v_dual_lshlrev_b32 v11, 16, v12 :: v_dual_lshlrev_b32 v18, 16, v14
	v_and_b32_e32 v19, 0xffff0000, v14
	v_alignbit_b32 v14, v15, v14, 16
	v_and_b32_e32 v15, 0xffff0000, v15
	s_delay_alu instid0(VALU_DEP_4) | instskip(SKIP_4) | instid1(VALU_DEP_4)
	v_add_f32_e32 v11, v11, v18
	v_and_b32_e32 v18, 0xffff0000, v12
	v_alignbit_b32 v12, v13, v12, 16
	v_and_b32_e32 v14, 0xffff0000, v14
	v_and_b32_e32 v13, 0xffff0000, v13
	v_add_f32_e32 v18, v18, v19
	s_wait_dscnt 0x0
	v_mul_f32_e32 v11, v8, v11
	v_and_b32_e32 v12, 0xffff0000, v12
	s_delay_alu instid0(VALU_DEP_3) | instskip(NEXT) | instid1(VALU_DEP_3)
	v_dual_add_f32 v13, v13, v15 :: v_dual_mul_f32 v18, v8, v18
	v_bfe_u32 v20, v11, 16, 1
	v_cmp_o_f32_e32 vcc_lo, v11, v11
	s_delay_alu instid0(VALU_DEP_4) | instskip(NEXT) | instid1(VALU_DEP_4)
	v_dual_add_f32 v12, v12, v14 :: v_dual_max_num_f32 v14, v9, v9
	v_bfe_u32 v21, v18, 16, 1
	s_delay_alu instid0(VALU_DEP_4) | instskip(NEXT) | instid1(VALU_DEP_3)
	v_add3_u32 v19, v11, v20, 0x7fff
	v_mul_f32_e32 v12, v8, v12
	s_delay_alu instid0(VALU_DEP_2) | instskip(SKIP_2) | instid1(VALU_DEP_3)
	v_and_b32_e32 v19, 0xffff0000, v19
	s_wait_loadcnt 0x0
	v_lshlrev_b32_e32 v20, 16, v16
	v_bfe_u32 v22, v12, 16, 1
	s_delay_alu instid0(VALU_DEP_3) | instskip(SKIP_4) | instid1(VALU_DEP_4)
	v_cndmask_b32_e32 v11, 0x7fc00000, v19, vcc_lo
	v_add3_u32 v19, v18, v21, 0x7fff
	v_cmp_o_f32_e32 vcc_lo, v18, v18
	v_and_b32_e32 v21, 0xffff0000, v16
	v_alignbit_b32 v16, v17, v16, 16
	v_and_b32_e32 v19, 0xffff0000, v19
	v_mul_f32_e32 v11, v11, v20
	s_delay_alu instid0(VALU_DEP_3) | instskip(NEXT) | instid1(VALU_DEP_3)
	v_and_b32_e32 v16, 0xffff0000, v16
	v_cndmask_b32_e32 v18, 0x7fc00000, v19, vcc_lo
	v_add3_u32 v19, v12, v22, 0x7fff
	s_delay_alu instid0(VALU_DEP_4) | instskip(SKIP_1) | instid1(VALU_DEP_3)
	v_bfe_u32 v20, v11, 16, 1
	v_cmp_o_f32_e32 vcc_lo, v12, v12
	v_and_b32_e32 v19, 0xffff0000, v19
	s_delay_alu instid0(VALU_DEP_3) | instskip(NEXT) | instid1(VALU_DEP_2)
	v_add3_u32 v15, v11, v20, 0x7fff
	v_dual_mul_f32 v13, v8, v13 :: v_dual_cndmask_b32 v12, 0x7fc00000, v19
	v_mul_f32_e32 v18, v18, v21
	s_delay_alu instid0(VALU_DEP_3) | instskip(NEXT) | instid1(VALU_DEP_3)
	v_and_b32_e32 v15, 0xffff0000, v15
	v_bfe_u32 v21, v13, 16, 1
	v_cmp_u_f32_e32 vcc_lo, v11, v11
	v_mul_f32_e32 v12, v12, v16
	v_bfe_u32 v20, v18, 16, 1
	v_max_num_f32_e64 v15, |v15|, |v15|
	v_and_b32_e32 v11, 0xffff0000, v17
	s_delay_alu instid0(VALU_DEP_3) | instskip(NEXT) | instid1(VALU_DEP_3)
	v_add3_u32 v19, v18, v20, 0x7fff
	v_max_num_f32_e32 v14, v14, v15
	v_add3_u32 v15, v13, v21, 0x7fff
	s_delay_alu instid0(VALU_DEP_3) | instskip(NEXT) | instid1(VALU_DEP_1)
	v_and_b32_e32 v16, 0xffff0000, v19
	v_max_num_f32_e64 v16, |v16|, |v16|
	s_delay_alu instid0(VALU_DEP_4) | instskip(NEXT) | instid1(VALU_DEP_4)
	v_cndmask_b32_e32 v9, v14, v9, vcc_lo
	v_and_b32_e32 v14, 0xffff0000, v15
	v_bfe_u32 v15, v12, 16, 1
	v_cmp_o_f32_e32 vcc_lo, v13, v13
	s_delay_alu instid0(VALU_DEP_4) | instskip(NEXT) | instid1(VALU_DEP_4)
	v_max_num_f32_e32 v17, v9, v9
	v_cndmask_b32_e32 v13, 0x7fc00000, v14, vcc_lo
	s_delay_alu instid0(VALU_DEP_4) | instskip(NEXT) | instid1(VALU_DEP_3)
	v_add3_u32 v14, v12, v15, 0x7fff
	v_max_num_f32_e32 v15, v17, v16
	v_cmp_u_f32_e32 vcc_lo, v18, v18
	s_delay_alu instid0(VALU_DEP_4) | instskip(NEXT) | instid1(VALU_DEP_4)
	v_mul_f32_e32 v13, v13, v11
	v_and_b32_e32 v11, 0xffff0000, v14
	s_delay_alu instid0(VALU_DEP_4) | instskip(SKIP_1) | instid1(VALU_DEP_4)
	v_cndmask_b32_e32 v9, v15, v9, vcc_lo
	v_cmp_u_f32_e32 vcc_lo, v12, v12
	v_bfe_u32 v14, v13, 16, 1
	s_delay_alu instid0(VALU_DEP_4) | instskip(NEXT) | instid1(VALU_DEP_4)
	v_max_num_f32_e64 v11, |v11|, |v11|
	v_max_num_f32_e32 v15, v9, v9
	s_delay_alu instid0(VALU_DEP_3) | instskip(NEXT) | instid1(VALU_DEP_2)
	v_add3_u32 v14, v13, v14, 0x7fff
	v_max_num_f32_e32 v11, v15, v11
	s_delay_alu instid0(VALU_DEP_2) | instskip(NEXT) | instid1(VALU_DEP_2)
	v_and_b32_e32 v14, 0xffff0000, v14
	v_cndmask_b32_e32 v9, v11, v9, vcc_lo
	v_cmp_u_f32_e32 vcc_lo, v13, v13
	s_delay_alu instid0(VALU_DEP_3) | instskip(NEXT) | instid1(VALU_DEP_3)
	v_max_num_f32_e64 v11, |v14|, |v14|
	v_max_num_f32_e32 v12, v9, v9
	s_delay_alu instid0(VALU_DEP_1) | instskip(NEXT) | instid1(VALU_DEP_1)
	v_dual_max_num_f32 v12, v12, v11 :: v_dual_add_nc_u32 v11, s20, v10
	v_cndmask_b32_e32 v9, v12, v9, vcc_lo
	s_delay_alu instid0(VALU_DEP_2)
	v_cmpx_gt_u32_e64 s11, v11
	s_cbranch_execz .LBB13_56
; %bb.58:                               ;   in Loop: Header=BB13_57 Depth=1
	s_clause 0x2
	global_load_b64 v[12:13], v11, s[12:13] scale_offset
	global_load_b64 v[14:15], v11, s[14:15] scale_offset
	;; [unrolled: 1-line block ×3, first 2 shown]
	s_mov_b32 s10, -1
	s_mov_b32 s37, exec_lo
	s_wait_loadcnt 0x1
	v_dual_lshlrev_b32 v18, 16, v12 :: v_dual_lshlrev_b32 v19, 16, v14
	v_and_b32_e32 v20, 0xffff0000, v14
	v_alignbit_b32 v14, v15, v14, 16
	v_and_b32_e32 v15, 0xffff0000, v15
	s_delay_alu instid0(VALU_DEP_4) | instskip(SKIP_4) | instid1(VALU_DEP_4)
	v_add_f32_e32 v18, v18, v19
	v_and_b32_e32 v19, 0xffff0000, v12
	v_alignbit_b32 v12, v13, v12, 16
	v_and_b32_e32 v14, 0xffff0000, v14
	v_and_b32_e32 v13, 0xffff0000, v13
	v_dual_add_f32 v19, v19, v20 :: v_dual_mul_f32 v18, v8, v18
	s_delay_alu instid0(VALU_DEP_4) | instskip(NEXT) | instid1(VALU_DEP_3)
	v_and_b32_e32 v12, 0xffff0000, v12
	v_add_f32_e32 v13, v13, v15
	s_delay_alu instid0(VALU_DEP_3) | instskip(NEXT) | instid1(VALU_DEP_4)
	v_mul_f32_e32 v19, v8, v19
	v_bfe_u32 v21, v18, 16, 1
	v_cmp_o_f32_e32 vcc_lo, v18, v18
	v_dual_add_f32 v12, v12, v14 :: v_dual_max_num_f32 v14, v9, v9
	s_delay_alu instid0(VALU_DEP_4) | instskip(NEXT) | instid1(VALU_DEP_4)
	v_bfe_u32 v22, v19, 16, 1
	v_add3_u32 v20, v18, v21, 0x7fff
	s_wait_loadcnt 0x0
	v_lshlrev_b32_e32 v21, 16, v16
	v_dual_mul_f32 v12, v8, v12 :: v_dual_mul_f32 v13, v8, v13
	s_delay_alu instid0(VALU_DEP_3) | instskip(NEXT) | instid1(VALU_DEP_2)
	v_and_b32_e32 v20, 0xffff0000, v20
	v_bfe_u32 v23, v12, 16, 1
	s_delay_alu instid0(VALU_DEP_2) | instskip(SKIP_4) | instid1(VALU_DEP_4)
	v_cndmask_b32_e32 v18, 0x7fc00000, v20, vcc_lo
	v_add3_u32 v20, v19, v22, 0x7fff
	v_cmp_o_f32_e32 vcc_lo, v19, v19
	v_and_b32_e32 v22, 0xffff0000, v16
	v_alignbit_b32 v16, v17, v16, 16
	v_and_b32_e32 v20, 0xffff0000, v20
	v_mul_f32_e32 v18, v18, v21
	s_delay_alu instid0(VALU_DEP_3) | instskip(NEXT) | instid1(VALU_DEP_3)
	v_and_b32_e32 v16, 0xffff0000, v16
	v_cndmask_b32_e32 v19, 0x7fc00000, v20, vcc_lo
	s_delay_alu instid0(VALU_DEP_3) | instskip(SKIP_2) | instid1(VALU_DEP_4)
	v_bfe_u32 v21, v18, 16, 1
	v_add3_u32 v20, v12, v23, 0x7fff
	v_cmp_o_f32_e32 vcc_lo, v12, v12
	v_mul_f32_e32 v19, v19, v22
	s_delay_alu instid0(VALU_DEP_4) | instskip(NEXT) | instid1(VALU_DEP_4)
	v_add3_u32 v15, v18, v21, 0x7fff
	v_and_b32_e32 v20, 0xffff0000, v20
	v_bfe_u32 v22, v13, 16, 1
	s_delay_alu instid0(VALU_DEP_4) | instskip(NEXT) | instid1(VALU_DEP_4)
	v_bfe_u32 v21, v19, 16, 1
	v_and_b32_e32 v15, 0xffff0000, v15
	s_delay_alu instid0(VALU_DEP_4) | instskip(SKIP_1) | instid1(VALU_DEP_4)
	v_cndmask_b32_e32 v12, 0x7fc00000, v20, vcc_lo
	v_cmp_u_f32_e32 vcc_lo, v18, v18
	v_add3_u32 v20, v19, v21, 0x7fff
	s_delay_alu instid0(VALU_DEP_4) | instskip(NEXT) | instid1(VALU_DEP_1)
	v_max_num_f32_e64 v15, |v15|, |v15|
	v_max_num_f32_e32 v14, v14, v15
	v_add3_u32 v15, v13, v22, 0x7fff
	s_delay_alu instid0(VALU_DEP_2) | instskip(NEXT) | instid1(VALU_DEP_2)
	v_cndmask_b32_e32 v9, v14, v9, vcc_lo
	v_and_b32_e32 v15, 0xffff0000, v15
	v_cmp_o_f32_e32 vcc_lo, v13, v13
	v_and_b32_e32 v14, 0xffff0000, v17
	s_delay_alu instid0(VALU_DEP_3) | instskip(SKIP_1) | instid1(VALU_DEP_2)
	v_dual_max_num_f32 v18, v9, v9 :: v_dual_cndmask_b32 v13, 0x7fc00000, v15
	v_cmp_u_f32_e32 vcc_lo, v19, v19
	v_dual_mul_f32 v13, v13, v14 :: v_dual_mul_f32 v12, v12, v16
	v_and_b32_e32 v16, 0xffff0000, v20
	s_delay_alu instid0(VALU_DEP_2) | instskip(NEXT) | instid1(VALU_DEP_2)
	v_bfe_u32 v17, v12, 16, 1
	v_max_num_f32_e64 v16, |v16|, |v16|
	s_delay_alu instid0(VALU_DEP_2) | instskip(NEXT) | instid1(VALU_DEP_2)
	v_add3_u32 v15, v12, v17, 0x7fff
	v_max_num_f32_e32 v16, v18, v16
	s_delay_alu instid0(VALU_DEP_2) | instskip(NEXT) | instid1(VALU_DEP_2)
	v_and_b32_e32 v14, 0xffff0000, v15
	v_cndmask_b32_e32 v9, v16, v9, vcc_lo
	v_bfe_u32 v15, v13, 16, 1
	v_cmp_u_f32_e32 vcc_lo, v12, v12
	s_delay_alu instid0(VALU_DEP_4) | instskip(NEXT) | instid1(VALU_DEP_4)
	v_max_num_f32_e64 v14, |v14|, |v14|
	v_max_num_f32_e32 v16, v9, v9
	s_delay_alu instid0(VALU_DEP_4) | instskip(NEXT) | instid1(VALU_DEP_2)
	v_add3_u32 v15, v13, v15, 0x7fff
	v_max_num_f32_e32 v14, v16, v14
	s_delay_alu instid0(VALU_DEP_2) | instskip(NEXT) | instid1(VALU_DEP_2)
	v_and_b32_e32 v15, 0xffff0000, v15
	v_cndmask_b32_e32 v9, v14, v9, vcc_lo
	s_delay_alu instid0(VALU_DEP_2) | instskip(SKIP_1) | instid1(VALU_DEP_3)
	v_max_num_f32_e64 v12, |v15|, |v15|
	v_cmp_u_f32_e32 vcc_lo, v13, v13
	v_max_num_f32_e32 v14, v9, v9
	s_delay_alu instid0(VALU_DEP_1) | instskip(NEXT) | instid1(VALU_DEP_1)
	v_dual_max_num_f32 v14, v14, v12 :: v_dual_add_nc_u32 v12, s26, v10
	v_cndmask_b32_e32 v9, v14, v9, vcc_lo
	s_delay_alu instid0(VALU_DEP_2)
	v_cmpx_gt_u32_e64 s11, v12
	s_cbranch_execz .LBB13_55
; %bb.59:                               ;   in Loop: Header=BB13_57 Depth=1
	s_clause 0x2
	global_load_b64 v[14:15], v12, s[12:13] scale_offset
	global_load_b64 v[16:17], v12, s[14:15] scale_offset
	;; [unrolled: 1-line block ×3, first 2 shown]
	s_mov_b32 s38, exec_lo
	s_wait_loadcnt 0x1
	s_wait_xcnt 0x0
	v_dual_lshlrev_b32 v12, 16, v14 :: v_dual_lshlrev_b32 v13, 16, v16
	v_and_b32_e32 v20, 0xffff0000, v16
	v_alignbit_b32 v16, v17, v16, 16
	v_and_b32_e32 v17, 0xffff0000, v17
	s_delay_alu instid0(VALU_DEP_4) | instskip(SKIP_4) | instid1(VALU_DEP_4)
	v_add_f32_e32 v12, v12, v13
	v_and_b32_e32 v13, 0xffff0000, v14
	v_alignbit_b32 v14, v15, v14, 16
	v_and_b32_e32 v16, 0xffff0000, v16
	v_and_b32_e32 v15, 0xffff0000, v15
	v_add_f32_e32 v13, v13, v20
	v_mul_f32_e32 v12, v8, v12
	v_and_b32_e32 v14, 0xffff0000, v14
	s_delay_alu instid0(VALU_DEP_4) | instskip(NEXT) | instid1(VALU_DEP_4)
	v_add_f32_e32 v15, v15, v17
	v_mul_f32_e32 v13, v8, v13
	s_delay_alu instid0(VALU_DEP_4) | instskip(SKIP_2) | instid1(VALU_DEP_4)
	v_bfe_u32 v21, v12, 16, 1
	v_cmp_o_f32_e32 vcc_lo, v12, v12
	v_dual_add_f32 v14, v14, v16 :: v_dual_max_num_f32 v16, v9, v9
	v_bfe_u32 v22, v13, 16, 1
	s_delay_alu instid0(VALU_DEP_4) | instskip(NEXT) | instid1(VALU_DEP_3)
	v_add3_u32 v20, v12, v21, 0x7fff
	v_dual_mul_f32 v15, v8, v15 :: v_dual_mul_f32 v14, v8, v14
	s_delay_alu instid0(VALU_DEP_2) | instskip(SKIP_2) | instid1(VALU_DEP_3)
	v_and_b32_e32 v20, 0xffff0000, v20
	s_wait_loadcnt 0x0
	v_lshlrev_b32_e32 v21, 16, v18
	v_bfe_u32 v23, v14, 16, 1
	s_delay_alu instid0(VALU_DEP_3) | instskip(SKIP_4) | instid1(VALU_DEP_4)
	v_cndmask_b32_e32 v12, 0x7fc00000, v20, vcc_lo
	v_add3_u32 v20, v13, v22, 0x7fff
	v_cmp_o_f32_e32 vcc_lo, v13, v13
	v_and_b32_e32 v22, 0xffff0000, v18
	v_alignbit_b32 v18, v19, v18, 16
	v_and_b32_e32 v20, 0xffff0000, v20
	v_mul_f32_e32 v12, v12, v21
	s_delay_alu instid0(VALU_DEP_3) | instskip(NEXT) | instid1(VALU_DEP_3)
	v_and_b32_e32 v18, 0xffff0000, v18
	v_cndmask_b32_e32 v13, 0x7fc00000, v20, vcc_lo
	s_delay_alu instid0(VALU_DEP_3) | instskip(SKIP_2) | instid1(VALU_DEP_4)
	v_bfe_u32 v21, v12, 16, 1
	v_add3_u32 v20, v14, v23, 0x7fff
	v_cmp_o_f32_e32 vcc_lo, v14, v14
	v_mul_f32_e32 v13, v13, v22
	s_delay_alu instid0(VALU_DEP_4) | instskip(NEXT) | instid1(VALU_DEP_4)
	v_add3_u32 v17, v12, v21, 0x7fff
	v_and_b32_e32 v20, 0xffff0000, v20
	v_bfe_u32 v22, v15, 16, 1
	s_delay_alu instid0(VALU_DEP_4) | instskip(NEXT) | instid1(VALU_DEP_4)
	v_bfe_u32 v21, v13, 16, 1
	v_and_b32_e32 v17, 0xffff0000, v17
	s_delay_alu instid0(VALU_DEP_4) | instskip(SKIP_4) | instid1(VALU_DEP_1)
	v_cndmask_b32_e32 v14, 0x7fc00000, v20, vcc_lo
	v_cmp_u_f32_e32 vcc_lo, v12, v12
	v_and_b32_e32 v12, 0xffff0000, v19
	v_add3_u32 v20, v13, v21, 0x7fff
	v_max_num_f32_e64 v17, |v17|, |v17|
	v_max_num_f32_e32 v16, v16, v17
	v_add3_u32 v17, v15, v22, 0x7fff
	s_delay_alu instid0(VALU_DEP_2) | instskip(NEXT) | instid1(VALU_DEP_2)
	v_cndmask_b32_e32 v9, v16, v9, vcc_lo
	v_and_b32_e32 v16, 0xffff0000, v17
	v_cmp_o_f32_e32 vcc_lo, v15, v15
	s_delay_alu instid0(VALU_DEP_3) | instskip(SKIP_1) | instid1(VALU_DEP_4)
	v_dual_max_num_f32 v19, v9, v9 :: v_dual_mul_f32 v14, v14, v18
	v_and_b32_e32 v18, 0xffff0000, v20
	v_cndmask_b32_e32 v15, 0x7fc00000, v16, vcc_lo
	v_cmp_u_f32_e32 vcc_lo, v13, v13
	s_delay_alu instid0(VALU_DEP_4) | instskip(NEXT) | instid1(VALU_DEP_4)
	v_bfe_u32 v17, v14, 16, 1
	v_max_num_f32_e64 v18, |v18|, |v18|
	s_delay_alu instid0(VALU_DEP_2) | instskip(NEXT) | instid1(VALU_DEP_2)
	v_add3_u32 v16, v14, v17, 0x7fff
	v_max_num_f32_e32 v17, v19, v18
	v_mul_f32_e32 v15, v15, v12
	s_delay_alu instid0(VALU_DEP_3) | instskip(NEXT) | instid1(VALU_DEP_3)
	v_and_b32_e32 v12, 0xffff0000, v16
	v_cndmask_b32_e32 v9, v17, v9, vcc_lo
	s_delay_alu instid0(VALU_DEP_3) | instskip(SKIP_1) | instid1(VALU_DEP_4)
	v_bfe_u32 v13, v15, 16, 1
	v_cmp_u_f32_e32 vcc_lo, v14, v14
	v_max_num_f32_e64 v12, |v12|, |v12|
	s_delay_alu instid0(VALU_DEP_4) | instskip(NEXT) | instid1(VALU_DEP_4)
	v_max_num_f32_e32 v16, v9, v9
	v_add3_u32 v13, v15, v13, 0x7fff
	s_delay_alu instid0(VALU_DEP_2) | instskip(NEXT) | instid1(VALU_DEP_2)
	v_max_num_f32_e32 v12, v16, v12
	v_and_b32_e32 v13, 0xffff0000, v13
	s_delay_alu instid0(VALU_DEP_2) | instskip(NEXT) | instid1(VALU_DEP_2)
	v_cndmask_b32_e32 v9, v12, v9, vcc_lo
	v_max_num_f32_e64 v12, |v13|, |v13|
	v_cmp_u_f32_e32 vcc_lo, v15, v15
	s_delay_alu instid0(VALU_DEP_3) | instskip(NEXT) | instid1(VALU_DEP_1)
	v_max_num_f32_e32 v13, v9, v9
	v_dual_max_num_f32 v13, v13, v12 :: v_dual_add_nc_u32 v12, s33, v10
                                        ; implicit-def: $vgpr10
	s_delay_alu instid0(VALU_DEP_1) | instskip(NEXT) | instid1(VALU_DEP_2)
	v_cndmask_b32_e32 v9, v13, v9, vcc_lo
	v_cmpx_gt_u32_e64 s11, v12
	s_xor_b32 s38, exec_lo, s38
	s_cbranch_execz .LBB13_54
; %bb.60:                               ;   in Loop: Header=BB13_57 Depth=1
	s_clause 0x2
	global_load_b64 v[14:15], v12, s[12:13] scale_offset
	global_load_b64 v[16:17], v12, s[14:15] scale_offset
	;; [unrolled: 1-line block ×3, first 2 shown]
	s_wait_loadcnt 0x1
	s_wait_xcnt 0x0
	v_dual_lshlrev_b32 v10, 16, v14 :: v_dual_lshlrev_b32 v12, 16, v16
	v_and_b32_e32 v13, 0xffff0000, v16
	v_alignbit_b32 v16, v17, v16, 16
	s_delay_alu instid0(VALU_DEP_3) | instskip(SKIP_1) | instid1(VALU_DEP_3)
	v_add_f32_e32 v10, v10, v12
	v_and_b32_e32 v12, 0xffff0000, v14
	v_and_b32_e32 v16, 0xffff0000, v16
	s_delay_alu instid0(VALU_DEP_2) | instskip(NEXT) | instid1(VALU_DEP_4)
	v_add_f32_e32 v12, v12, v13
	v_mul_f32_e32 v10, v8, v10
	v_alignbit_b32 v13, v15, v14, 16
	v_and_b32_e32 v15, 0xffff0000, v15
	s_delay_alu instid0(VALU_DEP_4) | instskip(NEXT) | instid1(VALU_DEP_4)
	v_mul_f32_e32 v12, v8, v12
	v_bfe_u32 v20, v10, 16, 1
	s_delay_alu instid0(VALU_DEP_4) | instskip(SKIP_1) | instid1(VALU_DEP_4)
	v_and_b32_e32 v13, 0xffff0000, v13
	v_cmp_o_f32_e32 vcc_lo, v10, v10
	v_bfe_u32 v21, v12, 16, 1
	s_delay_alu instid0(VALU_DEP_4) | instskip(SKIP_2) | instid1(VALU_DEP_2)
	v_add3_u32 v14, v10, v20, 0x7fff
	s_wait_loadcnt 0x0
	v_dual_add_f32 v13, v13, v16 :: v_dual_lshlrev_b32 v20, 16, v18
	v_and_b32_e32 v14, 0xffff0000, v14
	s_delay_alu instid0(VALU_DEP_1) | instskip(SKIP_3) | instid1(VALU_DEP_4)
	v_dual_mul_f32 v13, v8, v13 :: v_dual_cndmask_b32 v10, 0x7fc00000, v14
	v_add3_u32 v14, v12, v21, 0x7fff
	v_max_num_f32_e32 v16, v9, v9
	v_cmp_o_f32_e32 vcc_lo, v12, v12
	v_bfe_u32 v22, v13, 16, 1
	v_mul_f32_e32 v10, v10, v20
	v_and_b32_e32 v14, 0xffff0000, v14
	v_and_b32_e32 v20, 0xffff0000, v18
	v_alignbit_b32 v18, v19, v18, 16
	s_delay_alu instid0(VALU_DEP_4) | instskip(NEXT) | instid1(VALU_DEP_4)
	v_bfe_u32 v21, v10, 16, 1
	v_cndmask_b32_e32 v12, 0x7fc00000, v14, vcc_lo
	v_and_b32_e32 v14, 0xffff0000, v17
	v_cmp_o_f32_e32 vcc_lo, v13, v13
	s_delay_alu instid0(VALU_DEP_4) | instskip(SKIP_1) | instid1(VALU_DEP_4)
	v_add3_u32 v17, v10, v21, 0x7fff
	v_add3_u32 v21, v13, v22, 0x7fff
	v_add_f32_e32 v14, v15, v14
	s_delay_alu instid0(VALU_DEP_3) | instskip(SKIP_1) | instid1(VALU_DEP_4)
	v_and_b32_e32 v15, 0xffff0000, v17
	v_and_b32_e32 v17, 0xffff0000, v18
	;; [unrolled: 1-line block ×3, first 2 shown]
	s_delay_alu instid0(VALU_DEP_3) | instskip(NEXT) | instid1(VALU_DEP_2)
	v_max_num_f32_e64 v15, |v15|, |v15|
	v_cndmask_b32_e32 v13, 0x7fc00000, v18, vcc_lo
	v_cmp_u_f32_e32 vcc_lo, v10, v10
	s_delay_alu instid0(VALU_DEP_3) | instskip(NEXT) | instid1(VALU_DEP_3)
	v_max_num_f32_e32 v15, v16, v15
	v_dual_mul_f32 v12, v12, v20 :: v_dual_mul_f32 v13, v13, v17
	s_delay_alu instid0(VALU_DEP_2) | instskip(NEXT) | instid1(VALU_DEP_2)
	v_dual_mul_f32 v14, v8, v14 :: v_dual_cndmask_b32 v9, v15, v9
	v_bfe_u32 v20, v12, 16, 1
	s_delay_alu instid0(VALU_DEP_3) | instskip(NEXT) | instid1(VALU_DEP_3)
	v_bfe_u32 v15, v13, 16, 1
	v_bfe_u32 v16, v14, 16, 1
	v_cmp_o_f32_e32 vcc_lo, v14, v14
	s_delay_alu instid0(VALU_DEP_4) | instskip(NEXT) | instid1(VALU_DEP_4)
	v_add3_u32 v18, v12, v20, 0x7fff
	v_add3_u32 v15, v13, v15, 0x7fff
	s_delay_alu instid0(VALU_DEP_4) | instskip(NEXT) | instid1(VALU_DEP_3)
	v_add3_u32 v10, v14, v16, 0x7fff
	v_and_b32_e32 v17, 0xffff0000, v18
	v_and_b32_e32 v18, 0xffff0000, v19
	s_delay_alu instid0(VALU_DEP_3) | instskip(SKIP_1) | instid1(VALU_DEP_4)
	v_and_b32_e32 v10, 0xffff0000, v10
	v_and_b32_e32 v14, 0xffff0000, v15
	v_max_num_f32_e64 v16, |v17|, |v17|
	s_delay_alu instid0(VALU_DEP_3) | instskip(SKIP_1) | instid1(VALU_DEP_2)
	v_dual_max_num_f32 v17, v9, v9 :: v_dual_cndmask_b32 v10, 0x7fc00000, v10
	v_cmp_u_f32_e32 vcc_lo, v12, v12
	v_dual_max_num_f32 v16, v17, v16 :: v_dual_mul_f32 v12, v10, v18
	v_max_num_f32_e64 v10, |v14|, |v14|
	s_delay_alu instid0(VALU_DEP_2) | instskip(NEXT) | instid1(VALU_DEP_3)
	v_cndmask_b32_e32 v9, v16, v9, vcc_lo
	v_bfe_u32 v15, v12, 16, 1
	v_cmp_u_f32_e32 vcc_lo, v13, v13
	v_cmp_u_f32_e64 s10, v12, v12
	s_delay_alu instid0(VALU_DEP_4) | instskip(NEXT) | instid1(VALU_DEP_1)
	v_max_num_f32_e32 v14, v9, v9
	v_max_num_f32_e32 v10, v14, v10
	v_add3_u32 v14, v12, v15, 0x7fff
	s_delay_alu instid0(VALU_DEP_2) | instskip(NEXT) | instid1(VALU_DEP_2)
	v_cndmask_b32_e32 v9, v10, v9, vcc_lo
	v_and_b32_e32 v10, 0xffff0000, v14
	s_delay_alu instid0(VALU_DEP_2) | instskip(NEXT) | instid1(VALU_DEP_2)
	v_max_num_f32_e32 v13, v9, v9
	v_max_num_f32_e64 v14, |v10|, |v10|
	v_add3_u32 v10, s34, s20, v11
	s_delay_alu instid0(VALU_DEP_2) | instskip(NEXT) | instid1(VALU_DEP_2)
	v_max_num_f32_e32 v11, v13, v14
	v_cmp_le_u32_e32 vcc_lo, s11, v10
	s_delay_alu instid0(VALU_DEP_2)
	v_cndmask_b32_e64 v9, v11, v9, s10
	s_or_not1_b32 s10, vcc_lo, exec_lo
	s_branch .LBB13_54
.LBB13_61:
	s_or_b32 exec_lo, exec_lo, s27
.LBB13_62:
	s_delay_alu instid0(SALU_CYCLE_1)
	s_or_b32 exec_lo, exec_lo, s21
	ds_bpermute_b32 v3, v3, v9
	v_or_b32_e32 v10, 0x80, v2
	s_wait_dscnt 0x0
	v_cmp_lt_f32_e32 vcc_lo, v9, v3
	v_cndmask_b32_e32 v3, v9, v3, vcc_lo
	s_delay_alu instid0(VALU_DEP_1) | instskip(SKIP_1) | instid1(SALU_CYCLE_1)
	v_cndmask_b32_e64 v3, v9, v3, s1
	s_or_b32 s1, s1, s2
	s_or_b32 s1, s3, s1
	s_delay_alu instid0(SALU_CYCLE_1)
	s_or_b32 s1, s4, s1
	ds_bpermute_b32 v4, v4, v3
	s_or_b32 s1, s5, s1
	s_wait_dscnt 0x0
	v_cmp_lt_f32_e32 vcc_lo, v3, v4
	v_cndmask_b32_e32 v4, v3, v4, vcc_lo
	s_delay_alu instid0(VALU_DEP_1) | instskip(SKIP_4) | instid1(VALU_DEP_1)
	v_cndmask_b32_e64 v3, v3, v4, s2
	ds_bpermute_b32 v4, v5, v3
	s_wait_dscnt 0x0
	v_cmp_lt_f32_e32 vcc_lo, v3, v4
	v_cndmask_b32_e32 v4, v3, v4, vcc_lo
	v_cndmask_b32_e64 v3, v3, v4, s3
	ds_bpermute_b32 v4, v6, v3
	s_wait_dscnt 0x0
	v_cmp_lt_f32_e32 vcc_lo, v3, v4
	v_cndmask_b32_e32 v4, v3, v4, vcc_lo
	s_delay_alu instid0(VALU_DEP_1) | instskip(SKIP_4) | instid1(VALU_DEP_1)
	v_cndmask_b32_e64 v3, v3, v4, s4
	ds_bpermute_b32 v4, v7, v3
	s_wait_dscnt 0x0
	v_cmp_lt_f32_e32 vcc_lo, v3, v4
	v_cndmask_b32_e32 v4, v3, v4, vcc_lo
	v_cndmask_b32_e64 v3, v3, v4, s5
	ds_bpermute_b32 v4, v10, v3
	s_wait_dscnt 0x0
	v_cmp_lt_f32_e32 vcc_lo, v3, v4
	s_and_b32 vcc_lo, s8, vcc_lo
	v_cndmask_b32_e32 v3, v3, v4, vcc_lo
	s_or_b32 vcc_lo, s8, s1
	s_delay_alu instid0(VALU_DEP_1)
	v_cndmask_b32_e32 v3, v9, v3, vcc_lo
	s_and_saveexec_b32 s1, s6
; %bb.63:
	v_lshrrev_b32_e32 v4, 4, v0
	s_delay_alu instid0(VALU_DEP_1)
	v_and_b32_e32 v4, 60, v4
	ds_store_b32 v4, v3 offset:64
; %bb.64:
	s_or_b32 exec_lo, exec_lo, s1
	s_wait_dscnt 0x0
	s_barrier_signal -1
	s_barrier_wait -1
	s_and_saveexec_b32 s3, s7
	s_cbranch_execz .LBB13_66
; %bb.65:
	ds_load_b32 v3, v2 offset:64
	v_and_b32_e32 v4, 15, v1
	s_add_co_i32 s1, s20, 63
	v_or_b32_e32 v2, 32, v2
	s_lshr_b32 s2, s1, 6
	s_delay_alu instid0(VALU_DEP_2) | instskip(SKIP_4) | instid1(VALU_DEP_3)
	v_cmp_ne_u32_e32 vcc_lo, 15, v4
	v_add_nc_u32_e32 v6, 1, v4
	v_cmp_gt_u32_e64 s1, 12, v4
	v_add_co_ci_u32_e64 v5, null, 0, v1, vcc_lo
	v_cmp_gt_u32_e32 vcc_lo, 14, v4
	v_cndmask_b32_e64 v9, 0, 4, s1
	s_delay_alu instid0(VALU_DEP_3)
	v_lshlrev_b32_e32 v5, 2, v5
	v_cndmask_b32_e64 v7, 0, 2, vcc_lo
	s_wait_dscnt 0x0
	ds_bpermute_b32 v5, v5, v3
	v_add_lshl_u32 v7, v7, v1, 2
	v_add_lshl_u32 v1, v9, v1, 2
	s_wait_dscnt 0x0
	v_cmp_lt_f32_e32 vcc_lo, v3, v5
	v_cndmask_b32_e32 v5, v3, v5, vcc_lo
	v_cmp_gt_u32_e32 vcc_lo, s2, v6
	s_delay_alu instid0(VALU_DEP_2) | instskip(SKIP_3) | instid1(VALU_DEP_1)
	v_cndmask_b32_e32 v5, v3, v5, vcc_lo
	ds_bpermute_b32 v6, v7, v5
	s_wait_dscnt 0x0
	v_cmp_lt_f32_e64 s1, v5, v6
	v_dual_cndmask_b32 v6, v5, v6, s1 :: v_dual_add_nc_u32 v7, 2, v4
	s_delay_alu instid0(VALU_DEP_1) | instskip(NEXT) | instid1(VALU_DEP_1)
	v_cmp_gt_u32_e64 s1, s2, v7
	v_dual_cndmask_b32 v5, v5, v6, s1 :: v_dual_add_nc_u32 v6, 4, v4
	v_add_nc_u32_e32 v4, 8, v4
	ds_bpermute_b32 v1, v1, v5
	s_wait_dscnt 0x0
	v_cmp_lt_f32_e64 s1, v5, v1
	s_delay_alu instid0(VALU_DEP_1) | instskip(SKIP_1) | instid1(VALU_DEP_1)
	v_cndmask_b32_e64 v1, v5, v1, s1
	v_cmp_gt_u32_e64 s1, s2, v6
	v_cndmask_b32_e64 v1, v5, v1, s1
	v_cmp_gt_u32_e64 s1, s2, v4
	ds_bpermute_b32 v2, v2, v1
	s_wait_dscnt 0x0
	v_cmp_lt_f32_e64 s2, v1, v2
	s_and_b32 s1, s1, s2
	s_delay_alu instid0(SALU_CYCLE_1) | instskip(NEXT) | instid1(VALU_DEP_1)
	v_cndmask_b32_e64 v1, v1, v2, s1
	v_cndmask_b32_e32 v3, v3, v1, vcc_lo
.LBB13_66:
	s_or_b32 exec_lo, exec_lo, s3
	s_and_saveexec_b32 s1, s9
	s_cbranch_execz .LBB13_70
; %bb.67:
	s_cmp_eq_u64 s[24:25], 0
	s_cbranch_scc1 .LBB13_69
; %bb.68:
	v_dual_mov_b32 v1, 0 :: v_dual_max_num_f32 v2, v3, v3
	global_load_b32 v1, v1, s[24:25]
	s_wait_loadcnt 0x0
	v_max_num_f32_e32 v1, v1, v1
	s_delay_alu instid0(VALU_DEP_1)
	v_min_num_f32_e32 v3, v2, v1
.LBB13_69:
	s_delay_alu instid0(VALU_DEP_1)
	v_div_scale_f32 v1, null, 0x43600000, 0x43600000, v3
	v_div_scale_f32 v5, vcc_lo, v3, 0x43600000, v3
	s_lshl_b64 s[2:3], s[30:31], 2
	v_rcp_f32_e32 v2, v1
	s_add_nc_u64 s[2:3], s[18:19], s[2:3]
	v_nop
	s_delay_alu instid0(TRANS32_DEP_1) | instskip(NEXT) | instid1(VALU_DEP_1)
	v_fma_f32 v4, -v1, v2, 1.0
	v_fmac_f32_e32 v2, v4, v2
	s_delay_alu instid0(VALU_DEP_1) | instskip(NEXT) | instid1(VALU_DEP_1)
	v_mul_f32_e32 v4, v5, v2
	v_fma_f32 v6, -v1, v4, v5
	s_delay_alu instid0(VALU_DEP_1) | instskip(NEXT) | instid1(VALU_DEP_1)
	v_fmac_f32_e32 v4, v6, v2
	v_fma_f32 v1, -v1, v4, v5
	s_delay_alu instid0(VALU_DEP_1) | instskip(SKIP_1) | instid1(VALU_DEP_2)
	v_div_fmas_f32 v1, v1, v2, v4
	v_mov_b32_e32 v2, 0
	v_div_fixup_f32 v1, v1, 0x43600000, v3
	s_delay_alu instid0(VALU_DEP_1)
	v_max_num_f32_e32 v1, 0x37124925, v1
	ds_store_b32 v2, v1 offset:260
	global_store_b32 v2, v1, s[2:3]
.LBB13_70:
	s_wait_xcnt 0x0
	s_or_b32 exec_lo, exec_lo, s1
	s_wait_storecnt_dscnt 0x0
	s_barrier_signal -1
	s_barrier_wait -1
	s_and_saveexec_b32 s1, s0
	s_cbranch_execz .LBB13_207
; %bb.71:
	v_mov_b32_e32 v1, 0
	s_add_nc_u64 s[0:1], s[16:17], s[28:29]
	s_lshl_b32 s2, s20, 1
	s_mul_i32 s3, s20, 3
	s_mov_b32 s4, 0
	ds_load_b32 v9, v1 offset:260
	s_mov_b32 s5, 0x43600000
	s_add_co_i32 s6, s20, s20
	s_branch .LBB13_77
.LBB13_72:                              ;   in Loop: Header=BB13_77 Depth=1
	s_or_b32 exec_lo, exec_lo, s17
.LBB13_73:                              ;   in Loop: Header=BB13_77 Depth=1
	s_delay_alu instid0(SALU_CYCLE_1) | instskip(SKIP_3) | instid1(VALU_DEP_2)
	s_or_b32 exec_lo, exec_lo, s10
	v_lshl_add_u64 v[12:13], v[0:1], 2, s[0:1]
	v_add3_u32 v0, s6, s20, v2
	v_or_b32_e32 v2, v7, v3
	v_cmp_le_u32_e32 vcc_lo, s11, v0
	s_delay_alu instid0(VALU_DEP_2)
	v_or3_b32 v2, v2, v4, v10
	s_or_not1_b32 s10, vcc_lo, exec_lo
	global_store_b32 v[12:13], v2, off
.LBB13_74:                              ;   in Loop: Header=BB13_77 Depth=1
	s_wait_xcnt 0x0
	s_or_b32 exec_lo, exec_lo, s9
	s_delay_alu instid0(SALU_CYCLE_1)
	s_or_not1_b32 s9, s10, exec_lo
.LBB13_75:                              ;   in Loop: Header=BB13_77 Depth=1
	s_or_b32 exec_lo, exec_lo, s8
	s_delay_alu instid0(SALU_CYCLE_1)
	s_or_not1_b32 s8, s9, exec_lo
.LBB13_76:                              ;   in Loop: Header=BB13_77 Depth=1
	s_or_b32 exec_lo, exec_lo, s7
	s_delay_alu instid0(SALU_CYCLE_1) | instskip(NEXT) | instid1(SALU_CYCLE_1)
	s_and_b32 s7, exec_lo, s8
	s_or_b32 s4, s7, s4
	s_delay_alu instid0(SALU_CYCLE_1)
	s_and_not1_b32 exec_lo, exec_lo, s4
	s_cbranch_execz .LBB13_207
.LBB13_77:                              ; =>This Inner Loop Header: Depth=1
	s_clause 0x2
	global_load_b64 v[4:5], v0, s[12:13] scale_offset
	global_load_b64 v[6:7], v0, s[14:15] scale_offset
	;; [unrolled: 1-line block ×3, first 2 shown]
	s_mov_b32 s7, exec_lo
	s_wait_loadcnt 0x1
	v_dual_lshlrev_b32 v10, 16, v4 :: v_dual_lshlrev_b32 v11, 16, v6
	v_and_b32_e32 v15, 0xffff0000, v4
	v_alignbit_b32 v4, v5, v4, 16
	v_and_b32_e32 v5, 0xffff0000, v5
	s_wait_loadcnt 0x0
	v_dual_add_f32 v10, v10, v11 :: v_dual_lshlrev_b32 v13, 16, v2
	s_delay_alu instid0(VALU_DEP_3) | instskip(NEXT) | instid1(VALU_DEP_2)
	v_and_b32_e32 v4, 0xffff0000, v4
	v_mul_f32_e32 v11, v8, v10
	s_delay_alu instid0(VALU_DEP_1) | instskip(SKIP_1) | instid1(VALU_DEP_2)
	v_bfe_u32 v12, v11, 16, 1
	v_cmp_o_f32_e32 vcc_lo, v11, v11
	v_add3_u32 v12, v11, v12, 0x7fff
	s_delay_alu instid0(VALU_DEP_1) | instskip(NEXT) | instid1(VALU_DEP_1)
	v_and_b32_e32 v12, 0xffff0000, v12
	v_cndmask_b32_e32 v11, 0x7fc00000, v12, vcc_lo
	s_delay_alu instid0(VALU_DEP_1) | instskip(NEXT) | instid1(VALU_DEP_1)
	v_mul_f32_e32 v11, v11, v13
	v_bfe_u32 v12, v11, 16, 1
	v_cmp_o_f32_e32 vcc_lo, v11, v11
	s_delay_alu instid0(VALU_DEP_2) | instskip(NEXT) | instid1(VALU_DEP_1)
	v_add3_u32 v12, v11, v12, 0x7fff
	v_and_b32_e32 v12, 0xffff0000, v12
	s_delay_alu instid0(VALU_DEP_1) | instskip(SKIP_1) | instid1(VALU_DEP_1)
	v_cndmask_b32_e32 v11, 0x7fc00000, v12, vcc_lo
	s_wait_dscnt 0x0
	v_div_scale_f32 v12, null, v9, v9, v11
	v_div_scale_f32 v16, vcc_lo, v11, v9, v11
	s_delay_alu instid0(VALU_DEP_2) | instskip(SKIP_1) | instid1(TRANS32_DEP_1)
	v_rcp_f32_e32 v13, v12
	v_nop
	v_fma_f32 v14, -v12, v13, 1.0
	s_delay_alu instid0(VALU_DEP_1) | instskip(SKIP_3) | instid1(VALU_DEP_4)
	v_fmac_f32_e32 v13, v14, v13
	v_alignbit_b32 v14, v7, v6, 16
	v_and_b32_e32 v6, 0xffff0000, v6
	v_and_b32_e32 v7, 0xffff0000, v7
	v_mul_f32_e32 v17, v16, v13
	s_delay_alu instid0(VALU_DEP_4) | instskip(NEXT) | instid1(VALU_DEP_3)
	v_and_b32_e32 v14, 0xffff0000, v14
	v_dual_add_f32 v6, v15, v6 :: v_dual_add_f32 v5, v5, v7
	s_delay_alu instid0(VALU_DEP_3) | instskip(NEXT) | instid1(VALU_DEP_3)
	v_fma_f32 v15, -v12, v17, v16
	v_add_f32_e32 v7, v4, v14
	v_bfe_u32 v4, v10, 16, 1
	s_delay_alu instid0(VALU_DEP_4) | instskip(NEXT) | instid1(VALU_DEP_4)
	v_bfe_u32 v14, v6, 16, 1
	v_fmac_f32_e32 v17, v15, v13
	v_bfe_u32 v15, v5, 16, 1
	v_bfe_u32 v18, v7, 16, 1
	v_add3_u32 v4, v10, v4, 0x7fff
	v_add3_u32 v14, v6, v14, 0x7fff
	v_fma_f32 v12, -v12, v17, v16
	v_add3_u32 v15, v5, v15, 0x7fff
	v_add3_u32 v16, v7, v18, 0x7fff
	v_lshrrev_b32_e32 v4, 16, v4
	s_delay_alu instid0(VALU_DEP_4)
	v_div_fmas_f32 v12, v12, v13, v17
	v_and_b32_e32 v13, 0xffff0000, v14
	v_cmp_o_f32_e32 vcc_lo, v6, v6
	v_and_b32_e32 v14, 0xffff0000, v15
	v_lshrrev_b32_e32 v15, 16, v16
	v_div_fixup_f32 v11, v12, v9, v11
	v_cndmask_b32_e32 v12, 0x7fc00000, v13, vcc_lo
	v_cmp_o_f32_e32 vcc_lo, v10, v10
	s_delay_alu instid0(VALU_DEP_3) | instskip(SKIP_2) | instid1(VALU_DEP_3)
	v_minmax_num_f32 v10, v11, s5, 0xc3600000
	v_cndmask_b32_e32 v4, 0x7fc0, v4, vcc_lo
	v_cmp_o_f32_e32 vcc_lo, v5, v5
	v_and_b32_e32 v11, 0x7fffffff, v10
	s_delay_alu instid0(VALU_DEP_3) | instskip(SKIP_2) | instid1(VALU_DEP_3)
	v_or_b32_e32 v4, v4, v12
	v_cndmask_b32_e32 v13, 0x7fc00000, v14, vcc_lo
	v_cmp_o_f32_e32 vcc_lo, v7, v7
	v_or3_b32 v12, v4, 0, 0
	v_mov_b32_e32 v4, 0x80
	v_cndmask_b32_e32 v14, 0x7fc0, v15, vcc_lo
	s_delay_alu instid0(VALU_DEP_1)
	v_or3_b32 v13, 0, v14, v13
	global_store_b64 v0, v[12:13], s[14:15] scale_offset
	s_wait_xcnt 0x0
	v_cmpx_gt_u32_e32 0x43800000, v11
	s_cbranch_execz .LBB13_83
; %bb.78:                               ;   in Loop: Header=BB13_77 Depth=1
	v_cmp_lt_u32_e32 vcc_lo, 0x3bffffff, v11
	s_mov_b32 s8, 0
                                        ; implicit-def: $vgpr11
	s_and_saveexec_b32 s9, vcc_lo
	s_delay_alu instid0(SALU_CYCLE_1)
	s_xor_b32 s9, exec_lo, s9
	s_cbranch_execnz .LBB13_174
; %bb.79:                               ;   in Loop: Header=BB13_77 Depth=1
	s_and_not1_saveexec_b32 s9, s9
	s_cbranch_execnz .LBB13_175
.LBB13_80:                              ;   in Loop: Header=BB13_77 Depth=1
	s_or_b32 exec_lo, exec_lo, s9
	v_mov_b32_e32 v4, 0
	s_and_saveexec_b32 s9, s8
.LBB13_81:                              ;   in Loop: Header=BB13_77 Depth=1
	v_lshrrev_b32_e32 v4, 24, v10
	s_delay_alu instid0(VALU_DEP_1)
	v_and_or_b32 v4, 0x80, v4, v11
.LBB13_82:                              ;   in Loop: Header=BB13_77 Depth=1
	s_or_b32 exec_lo, exec_lo, s9
.LBB13_83:                              ;   in Loop: Header=BB13_77 Depth=1
	s_delay_alu instid0(SALU_CYCLE_1) | instskip(SKIP_3) | instid1(VALU_DEP_2)
	s_or_b32 exec_lo, exec_lo, s7
	v_mul_f32_e32 v6, v8, v6
	v_and_b32_e32 v11, 0xffff0000, v2
	s_mov_b32 s7, exec_lo
	v_bfe_u32 v10, v6, 16, 1
	v_cmp_o_f32_e32 vcc_lo, v6, v6
	s_delay_alu instid0(VALU_DEP_2) | instskip(NEXT) | instid1(VALU_DEP_1)
	v_add3_u32 v10, v6, v10, 0x7fff
	v_and_b32_e32 v10, 0xffff0000, v10
	s_delay_alu instid0(VALU_DEP_1) | instskip(NEXT) | instid1(VALU_DEP_1)
	v_cndmask_b32_e32 v6, 0x7fc00000, v10, vcc_lo
	v_mul_f32_e32 v6, v6, v11
	s_delay_alu instid0(VALU_DEP_1) | instskip(SKIP_1) | instid1(VALU_DEP_2)
	v_bfe_u32 v10, v6, 16, 1
	v_cmp_o_f32_e32 vcc_lo, v6, v6
	v_add3_u32 v10, v6, v10, 0x7fff
	s_delay_alu instid0(VALU_DEP_1) | instskip(NEXT) | instid1(VALU_DEP_1)
	v_and_b32_e32 v10, 0xffff0000, v10
	v_cndmask_b32_e32 v6, 0x7fc00000, v10, vcc_lo
	s_delay_alu instid0(VALU_DEP_1) | instskip(SKIP_1) | instid1(VALU_DEP_2)
	v_div_scale_f32 v10, null, v9, v9, v6
	v_div_scale_f32 v13, vcc_lo, v6, v9, v6
	v_rcp_f32_e32 v11, v10
	v_nop
	s_delay_alu instid0(TRANS32_DEP_1) | instskip(NEXT) | instid1(VALU_DEP_1)
	v_fma_f32 v12, -v10, v11, 1.0
	v_fmac_f32_e32 v11, v12, v11
	s_delay_alu instid0(VALU_DEP_1) | instskip(NEXT) | instid1(VALU_DEP_1)
	v_mul_f32_e32 v12, v13, v11
	v_fma_f32 v14, -v10, v12, v13
	s_delay_alu instid0(VALU_DEP_1) | instskip(NEXT) | instid1(VALU_DEP_1)
	v_fmac_f32_e32 v12, v14, v11
	v_fma_f32 v10, -v10, v12, v13
	s_delay_alu instid0(VALU_DEP_1) | instskip(NEXT) | instid1(VALU_DEP_1)
	v_div_fmas_f32 v10, v10, v11, v12
	v_div_fixup_f32 v6, v10, v9, v6
	s_delay_alu instid0(VALU_DEP_1) | instskip(SKIP_1) | instid1(VALU_DEP_2)
	v_minmax_num_f32 v10, v6, s5, 0xc3600000
	v_mov_b32_e32 v6, 0x8000
	v_and_b32_e32 v11, 0x7fffffff, v10
	s_delay_alu instid0(VALU_DEP_1)
	v_cmpx_gt_u32_e32 0x43800000, v11
	s_cbranch_execz .LBB13_89
; %bb.84:                               ;   in Loop: Header=BB13_77 Depth=1
	v_cmp_lt_u32_e32 vcc_lo, 0x3bffffff, v11
	s_mov_b32 s8, 0
                                        ; implicit-def: $vgpr11
	s_and_saveexec_b32 s9, vcc_lo
	s_delay_alu instid0(SALU_CYCLE_1)
	s_xor_b32 s9, exec_lo, s9
	s_cbranch_execnz .LBB13_176
; %bb.85:                               ;   in Loop: Header=BB13_77 Depth=1
	s_and_not1_saveexec_b32 s9, s9
	s_cbranch_execnz .LBB13_177
.LBB13_86:                              ;   in Loop: Header=BB13_77 Depth=1
	s_or_b32 exec_lo, exec_lo, s9
	v_mov_b32_e32 v6, 0
	s_and_saveexec_b32 s9, s8
.LBB13_87:                              ;   in Loop: Header=BB13_77 Depth=1
	v_lshrrev_b32_e32 v6, 24, v10
	s_delay_alu instid0(VALU_DEP_1) | instskip(NEXT) | instid1(VALU_DEP_1)
	v_and_or_b32 v6, 0x80, v6, v11
	v_lshlrev_b32_e32 v6, 8, v6
.LBB13_88:                              ;   in Loop: Header=BB13_77 Depth=1
	s_or_b32 exec_lo, exec_lo, s9
.LBB13_89:                              ;   in Loop: Header=BB13_77 Depth=1
	s_delay_alu instid0(SALU_CYCLE_1) | instskip(SKIP_3) | instid1(VALU_DEP_2)
	s_or_b32 exec_lo, exec_lo, s7
	v_mul_f32_e32 v7, v8, v7
	v_alignbit_b32 v2, v3, v2, 16
	s_mov_b32 s7, exec_lo
	v_bfe_u32 v10, v7, 16, 1
	v_cmp_o_f32_e32 vcc_lo, v7, v7
	s_delay_alu instid0(VALU_DEP_3) | instskip(NEXT) | instid1(VALU_DEP_3)
	v_and_b32_e32 v2, 0xffff0000, v2
	v_add3_u32 v10, v7, v10, 0x7fff
	s_delay_alu instid0(VALU_DEP_1) | instskip(NEXT) | instid1(VALU_DEP_1)
	v_and_b32_e32 v10, 0xffff0000, v10
	v_cndmask_b32_e32 v7, 0x7fc00000, v10, vcc_lo
	s_delay_alu instid0(VALU_DEP_1) | instskip(NEXT) | instid1(VALU_DEP_1)
	v_mul_f32_e32 v2, v7, v2
	v_bfe_u32 v7, v2, 16, 1
	v_cmp_o_f32_e32 vcc_lo, v2, v2
	s_delay_alu instid0(VALU_DEP_2) | instskip(NEXT) | instid1(VALU_DEP_1)
	v_add3_u32 v7, v2, v7, 0x7fff
	v_and_b32_e32 v7, 0xffff0000, v7
	s_delay_alu instid0(VALU_DEP_1) | instskip(NEXT) | instid1(VALU_DEP_1)
	v_cndmask_b32_e32 v2, 0x7fc00000, v7, vcc_lo
	v_div_scale_f32 v7, null, v9, v9, v2
	v_div_scale_f32 v12, vcc_lo, v2, v9, v2
	s_delay_alu instid0(VALU_DEP_2) | instskip(SKIP_1) | instid1(TRANS32_DEP_1)
	v_rcp_f32_e32 v10, v7
	v_nop
	v_fma_f32 v11, -v7, v10, 1.0
	s_delay_alu instid0(VALU_DEP_1) | instskip(NEXT) | instid1(VALU_DEP_1)
	v_fmac_f32_e32 v10, v11, v10
	v_mul_f32_e32 v11, v12, v10
	s_delay_alu instid0(VALU_DEP_1) | instskip(NEXT) | instid1(VALU_DEP_1)
	v_fma_f32 v13, -v7, v11, v12
	v_fmac_f32_e32 v11, v13, v10
	s_delay_alu instid0(VALU_DEP_1) | instskip(NEXT) | instid1(VALU_DEP_1)
	v_fma_f32 v7, -v7, v11, v12
	v_div_fmas_f32 v7, v7, v10, v11
	s_delay_alu instid0(VALU_DEP_1) | instskip(SKIP_1) | instid1(VALU_DEP_2)
	v_div_fixup_f32 v2, v7, v9, v2
	v_mov_b32_e32 v7, 0x800000
	v_minmax_num_f32 v2, v2, s5, 0xc3600000
	s_delay_alu instid0(VALU_DEP_1) | instskip(NEXT) | instid1(VALU_DEP_1)
	v_and_b32_e32 v10, 0x7fffffff, v2
	v_cmpx_gt_u32_e32 0x43800000, v10
	s_cbranch_execz .LBB13_95
; %bb.90:                               ;   in Loop: Header=BB13_77 Depth=1
	v_cmp_lt_u32_e32 vcc_lo, 0x3bffffff, v10
	s_mov_b32 s8, 0
                                        ; implicit-def: $vgpr10
	s_and_saveexec_b32 s9, vcc_lo
	s_delay_alu instid0(SALU_CYCLE_1)
	s_xor_b32 s9, exec_lo, s9
	s_cbranch_execnz .LBB13_178
; %bb.91:                               ;   in Loop: Header=BB13_77 Depth=1
	s_and_not1_saveexec_b32 s9, s9
	s_cbranch_execnz .LBB13_179
.LBB13_92:                              ;   in Loop: Header=BB13_77 Depth=1
	s_or_b32 exec_lo, exec_lo, s9
	v_mov_b32_e32 v7, 0
	s_and_saveexec_b32 s9, s8
.LBB13_93:                              ;   in Loop: Header=BB13_77 Depth=1
	v_lshrrev_b32_e32 v2, 24, v2
	s_delay_alu instid0(VALU_DEP_1) | instskip(NEXT) | instid1(VALU_DEP_1)
	v_and_or_b32 v2, 0x80, v2, v10
	v_lshlrev_b32_e32 v7, 16, v2
.LBB13_94:                              ;   in Loop: Header=BB13_77 Depth=1
	s_or_b32 exec_lo, exec_lo, s9
.LBB13_95:                              ;   in Loop: Header=BB13_77 Depth=1
	s_delay_alu instid0(SALU_CYCLE_1) | instskip(SKIP_3) | instid1(VALU_DEP_2)
	s_or_b32 exec_lo, exec_lo, s7
	v_mul_f32_e32 v2, v8, v5
	v_and_b32_e32 v3, 0xffff0000, v3
	s_mov_b32 s7, exec_lo
	v_bfe_u32 v5, v2, 16, 1
	v_cmp_o_f32_e32 vcc_lo, v2, v2
	s_delay_alu instid0(VALU_DEP_2) | instskip(NEXT) | instid1(VALU_DEP_1)
	v_add3_u32 v5, v2, v5, 0x7fff
	v_and_b32_e32 v5, 0xffff0000, v5
	s_delay_alu instid0(VALU_DEP_1) | instskip(NEXT) | instid1(VALU_DEP_1)
	v_cndmask_b32_e32 v2, 0x7fc00000, v5, vcc_lo
	v_mul_f32_e32 v2, v2, v3
	s_delay_alu instid0(VALU_DEP_1) | instskip(SKIP_1) | instid1(VALU_DEP_2)
	v_bfe_u32 v3, v2, 16, 1
	v_cmp_o_f32_e32 vcc_lo, v2, v2
	v_add3_u32 v3, v2, v3, 0x7fff
	s_delay_alu instid0(VALU_DEP_1) | instskip(NEXT) | instid1(VALU_DEP_1)
	v_and_b32_e32 v3, 0xffff0000, v3
	v_cndmask_b32_e32 v2, 0x7fc00000, v3, vcc_lo
	s_delay_alu instid0(VALU_DEP_1) | instskip(SKIP_1) | instid1(VALU_DEP_2)
	v_div_scale_f32 v3, null, v9, v9, v2
	v_div_scale_f32 v11, vcc_lo, v2, v9, v2
	v_rcp_f32_e32 v5, v3
	v_nop
	s_delay_alu instid0(TRANS32_DEP_1) | instskip(NEXT) | instid1(VALU_DEP_1)
	v_fma_f32 v10, -v3, v5, 1.0
	v_fmac_f32_e32 v5, v10, v5
	s_delay_alu instid0(VALU_DEP_1) | instskip(NEXT) | instid1(VALU_DEP_1)
	v_mul_f32_e32 v10, v11, v5
	v_fma_f32 v12, -v3, v10, v11
	s_delay_alu instid0(VALU_DEP_1) | instskip(NEXT) | instid1(VALU_DEP_1)
	v_fmac_f32_e32 v10, v12, v5
	v_fma_f32 v3, -v3, v10, v11
	s_delay_alu instid0(VALU_DEP_1) | instskip(SKIP_1) | instid1(VALU_DEP_2)
	v_div_fmas_f32 v3, v3, v5, v10
	v_bfrev_b32_e32 v5, 1
	v_div_fixup_f32 v2, v3, v9, v2
	s_delay_alu instid0(VALU_DEP_1) | instskip(NEXT) | instid1(VALU_DEP_1)
	v_minmax_num_f32 v2, v2, s5, 0xc3600000
	v_and_b32_e32 v3, 0x7fffffff, v2
	s_delay_alu instid0(VALU_DEP_1)
	v_cmpx_gt_u32_e32 0x43800000, v3
	s_cbranch_execz .LBB13_101
; %bb.96:                               ;   in Loop: Header=BB13_77 Depth=1
	v_cmp_lt_u32_e32 vcc_lo, 0x3bffffff, v3
	s_mov_b32 s8, 0
                                        ; implicit-def: $vgpr3
	s_and_saveexec_b32 s9, vcc_lo
	s_delay_alu instid0(SALU_CYCLE_1)
	s_xor_b32 s9, exec_lo, s9
	s_cbranch_execnz .LBB13_180
; %bb.97:                               ;   in Loop: Header=BB13_77 Depth=1
	s_and_not1_saveexec_b32 s9, s9
	s_cbranch_execnz .LBB13_181
.LBB13_98:                              ;   in Loop: Header=BB13_77 Depth=1
	s_or_b32 exec_lo, exec_lo, s9
	v_mov_b32_e32 v5, 0
	s_and_saveexec_b32 s9, s8
.LBB13_99:                              ;   in Loop: Header=BB13_77 Depth=1
	v_and_b32_e32 v2, 0x80000000, v2
	s_delay_alu instid0(VALU_DEP_1)
	v_lshl_or_b32 v5, v3, 24, v2
.LBB13_100:                             ;   in Loop: Header=BB13_77 Depth=1
	s_or_b32 exec_lo, exec_lo, s9
.LBB13_101:                             ;   in Loop: Header=BB13_77 Depth=1
	s_delay_alu instid0(SALU_CYCLE_1)
	s_or_b32 exec_lo, exec_lo, s7
	v_or_b32_e32 v3, v6, v4
	v_add_nc_u32_e32 v2, s20, v0
	v_lshl_add_u64 v[10:11], v[0:1], 2, s[0:1]
	s_mov_b32 s8, -1
	s_mov_b32 s7, exec_lo
	v_or3_b32 v3, v3, v7, v5
	global_store_b32 v[10:11], v3, off
	s_wait_xcnt 0x0
	v_cmpx_gt_u32_e64 s11, v2
	s_cbranch_execz .LBB13_76
; %bb.102:                              ;   in Loop: Header=BB13_77 Depth=1
	s_clause 0x2
	global_load_b64 v[6:7], v2, s[12:13] scale_offset
	global_load_b64 v[10:11], v2, s[14:15] scale_offset
	;; [unrolled: 1-line block ×3, first 2 shown]
	s_mov_b32 s8, exec_lo
	s_wait_loadcnt 0x2
	v_lshlrev_b32_e32 v3, 16, v6
	s_wait_loadcnt 0x0
	v_dual_lshlrev_b32 v12, 16, v10 :: v_dual_lshlrev_b32 v14, 16, v4
	v_and_b32_e32 v16, 0xffff0000, v6
	v_alignbit_b32 v6, v7, v6, 16
	s_delay_alu instid0(VALU_DEP_3) | instskip(NEXT) | instid1(VALU_DEP_2)
	v_add_f32_e32 v12, v3, v12
	v_and_b32_e32 v6, 0xffff0000, v6
	s_delay_alu instid0(VALU_DEP_2) | instskip(NEXT) | instid1(VALU_DEP_1)
	v_mul_f32_e32 v3, v8, v12
	v_bfe_u32 v13, v3, 16, 1
	v_cmp_o_f32_e32 vcc_lo, v3, v3
	s_delay_alu instid0(VALU_DEP_2) | instskip(NEXT) | instid1(VALU_DEP_1)
	v_add3_u32 v13, v3, v13, 0x7fff
	v_and_b32_e32 v13, 0xffff0000, v13
	s_delay_alu instid0(VALU_DEP_1) | instskip(NEXT) | instid1(VALU_DEP_1)
	v_cndmask_b32_e32 v3, 0x7fc00000, v13, vcc_lo
	v_mul_f32_e32 v3, v3, v14
	s_delay_alu instid0(VALU_DEP_1) | instskip(SKIP_1) | instid1(VALU_DEP_2)
	v_bfe_u32 v13, v3, 16, 1
	v_cmp_o_f32_e32 vcc_lo, v3, v3
	v_add3_u32 v13, v3, v13, 0x7fff
	s_delay_alu instid0(VALU_DEP_1) | instskip(NEXT) | instid1(VALU_DEP_1)
	v_and_b32_e32 v13, 0xffff0000, v13
	v_cndmask_b32_e32 v13, 0x7fc00000, v13, vcc_lo
	s_delay_alu instid0(VALU_DEP_1) | instskip(NEXT) | instid1(VALU_DEP_1)
	v_div_scale_f32 v14, null, v9, v9, v13
	v_rcp_f32_e32 v15, v14
	v_nop
	s_delay_alu instid0(TRANS32_DEP_1) | instskip(NEXT) | instid1(VALU_DEP_1)
	v_fma_f32 v3, -v14, v15, 1.0
	v_fmac_f32_e32 v15, v3, v15
	v_and_b32_e32 v3, 0xffff0000, v7
	v_alignbit_b32 v7, v11, v10, 16
	v_and_b32_e32 v10, 0xffff0000, v10
	v_and_b32_e32 v11, 0xffff0000, v11
	s_delay_alu instid0(VALU_DEP_3) | instskip(NEXT) | instid1(VALU_DEP_2)
	v_and_b32_e32 v19, 0xffff0000, v7
	v_dual_add_f32 v7, v16, v10 :: v_dual_add_f32 v3, v3, v11
	s_delay_alu instid0(VALU_DEP_2) | instskip(SKIP_2) | instid1(VALU_DEP_4)
	v_add_f32_e32 v10, v6, v19
	v_div_scale_f32 v17, vcc_lo, v13, v9, v13
	v_bfe_u32 v6, v12, 16, 1
	v_bfe_u32 v11, v7, 16, 1
	s_delay_alu instid0(VALU_DEP_4) | instskip(NEXT) | instid1(VALU_DEP_4)
	v_bfe_u32 v19, v10, 16, 1
	v_mul_f32_e32 v18, v17, v15
	s_delay_alu instid0(VALU_DEP_4) | instskip(NEXT) | instid1(VALU_DEP_4)
	v_add3_u32 v6, v12, v6, 0x7fff
	v_add3_u32 v11, v7, v11, 0x7fff
	s_delay_alu instid0(VALU_DEP_3) | instskip(NEXT) | instid1(VALU_DEP_3)
	v_fma_f32 v16, -v14, v18, v17
	v_lshrrev_b32_e32 v6, 16, v6
	s_delay_alu instid0(VALU_DEP_3) | instskip(NEXT) | instid1(VALU_DEP_3)
	v_and_b32_e32 v11, 0xffff0000, v11
	v_fmac_f32_e32 v18, v16, v15
	v_bfe_u32 v16, v3, 16, 1
	s_delay_alu instid0(VALU_DEP_2) | instskip(NEXT) | instid1(VALU_DEP_2)
	v_fma_f32 v14, -v14, v18, v17
	v_add3_u32 v16, v3, v16, 0x7fff
	v_add3_u32 v17, v10, v19, 0x7fff
	s_delay_alu instid0(VALU_DEP_3) | instskip(SKIP_1) | instid1(VALU_DEP_4)
	v_div_fmas_f32 v14, v14, v15, v18
	v_cmp_o_f32_e32 vcc_lo, v7, v7
	v_and_b32_e32 v15, 0xffff0000, v16
	s_delay_alu instid0(VALU_DEP_4) | instskip(NEXT) | instid1(VALU_DEP_4)
	v_lshrrev_b32_e32 v16, 16, v17
	v_div_fixup_f32 v13, v14, v9, v13
	v_cndmask_b32_e32 v14, 0x7fc00000, v11, vcc_lo
	v_cmp_o_f32_e32 vcc_lo, v12, v12
	s_delay_alu instid0(VALU_DEP_3) | instskip(SKIP_2) | instid1(VALU_DEP_3)
	v_minmax_num_f32 v11, v13, s5, 0xc3600000
	v_cndmask_b32_e32 v6, 0x7fc0, v6, vcc_lo
	v_cmp_o_f32_e32 vcc_lo, v3, v3
	v_and_b32_e32 v12, 0x7fffffff, v11
	s_delay_alu instid0(VALU_DEP_3) | instskip(SKIP_2) | instid1(VALU_DEP_3)
	v_or_b32_e32 v6, v6, v14
	v_cndmask_b32_e32 v13, 0x7fc00000, v15, vcc_lo
	v_cmp_o_f32_e32 vcc_lo, v10, v10
	v_or3_b32 v14, v6, 0, 0
	v_mov_b32_e32 v6, 0x80
	v_cndmask_b32_e32 v15, 0x7fc0, v16, vcc_lo
	s_delay_alu instid0(VALU_DEP_1)
	v_or3_b32 v15, 0, v15, v13
	global_store_b64 v2, v[14:15], s[14:15] scale_offset
	s_wait_xcnt 0x0
	v_cmpx_gt_u32_e32 0x43800000, v12
	s_cbranch_execz .LBB13_108
; %bb.103:                              ;   in Loop: Header=BB13_77 Depth=1
	v_cmp_lt_u32_e32 vcc_lo, 0x3bffffff, v12
	s_mov_b32 s9, 0
                                        ; implicit-def: $vgpr12
	s_and_saveexec_b32 s10, vcc_lo
	s_delay_alu instid0(SALU_CYCLE_1)
	s_xor_b32 s10, exec_lo, s10
	s_cbranch_execnz .LBB13_182
; %bb.104:                              ;   in Loop: Header=BB13_77 Depth=1
	s_and_not1_saveexec_b32 s10, s10
	s_cbranch_execnz .LBB13_183
.LBB13_105:                             ;   in Loop: Header=BB13_77 Depth=1
	s_or_b32 exec_lo, exec_lo, s10
	v_mov_b32_e32 v6, 0
	s_and_saveexec_b32 s10, s9
.LBB13_106:                             ;   in Loop: Header=BB13_77 Depth=1
	v_lshrrev_b32_e32 v6, 24, v11
	s_delay_alu instid0(VALU_DEP_1)
	v_and_or_b32 v6, 0x80, v6, v12
.LBB13_107:                             ;   in Loop: Header=BB13_77 Depth=1
	s_or_b32 exec_lo, exec_lo, s10
.LBB13_108:                             ;   in Loop: Header=BB13_77 Depth=1
	s_delay_alu instid0(SALU_CYCLE_1) | instskip(SKIP_3) | instid1(VALU_DEP_2)
	s_or_b32 exec_lo, exec_lo, s8
	v_mul_f32_e32 v7, v8, v7
	v_and_b32_e32 v12, 0xffff0000, v4
	s_mov_b32 s8, exec_lo
	v_bfe_u32 v11, v7, 16, 1
	v_cmp_o_f32_e32 vcc_lo, v7, v7
	s_delay_alu instid0(VALU_DEP_2) | instskip(NEXT) | instid1(VALU_DEP_1)
	v_add3_u32 v11, v7, v11, 0x7fff
	v_and_b32_e32 v11, 0xffff0000, v11
	s_delay_alu instid0(VALU_DEP_1) | instskip(NEXT) | instid1(VALU_DEP_1)
	v_cndmask_b32_e32 v7, 0x7fc00000, v11, vcc_lo
	v_mul_f32_e32 v7, v7, v12
	s_delay_alu instid0(VALU_DEP_1) | instskip(SKIP_1) | instid1(VALU_DEP_2)
	v_bfe_u32 v11, v7, 16, 1
	v_cmp_o_f32_e32 vcc_lo, v7, v7
	v_add3_u32 v11, v7, v11, 0x7fff
	s_delay_alu instid0(VALU_DEP_1) | instskip(NEXT) | instid1(VALU_DEP_1)
	v_and_b32_e32 v11, 0xffff0000, v11
	v_cndmask_b32_e32 v7, 0x7fc00000, v11, vcc_lo
	s_delay_alu instid0(VALU_DEP_1) | instskip(SKIP_1) | instid1(VALU_DEP_2)
	v_div_scale_f32 v11, null, v9, v9, v7
	v_div_scale_f32 v14, vcc_lo, v7, v9, v7
	v_rcp_f32_e32 v12, v11
	v_nop
	s_delay_alu instid0(TRANS32_DEP_1) | instskip(NEXT) | instid1(VALU_DEP_1)
	v_fma_f32 v13, -v11, v12, 1.0
	v_fmac_f32_e32 v12, v13, v12
	s_delay_alu instid0(VALU_DEP_1) | instskip(NEXT) | instid1(VALU_DEP_1)
	v_mul_f32_e32 v13, v14, v12
	v_fma_f32 v15, -v11, v13, v14
	s_delay_alu instid0(VALU_DEP_1) | instskip(NEXT) | instid1(VALU_DEP_1)
	v_fmac_f32_e32 v13, v15, v12
	v_fma_f32 v11, -v11, v13, v14
	s_delay_alu instid0(VALU_DEP_1) | instskip(NEXT) | instid1(VALU_DEP_1)
	v_div_fmas_f32 v11, v11, v12, v13
	v_div_fixup_f32 v7, v11, v9, v7
	s_delay_alu instid0(VALU_DEP_1) | instskip(SKIP_1) | instid1(VALU_DEP_2)
	v_minmax_num_f32 v11, v7, s5, 0xc3600000
	v_mov_b32_e32 v7, 0x8000
	v_and_b32_e32 v12, 0x7fffffff, v11
	s_delay_alu instid0(VALU_DEP_1)
	v_cmpx_gt_u32_e32 0x43800000, v12
	s_cbranch_execz .LBB13_114
; %bb.109:                              ;   in Loop: Header=BB13_77 Depth=1
	v_cmp_lt_u32_e32 vcc_lo, 0x3bffffff, v12
	s_mov_b32 s9, 0
                                        ; implicit-def: $vgpr12
	s_and_saveexec_b32 s10, vcc_lo
	s_delay_alu instid0(SALU_CYCLE_1)
	s_xor_b32 s10, exec_lo, s10
	s_cbranch_execnz .LBB13_184
; %bb.110:                              ;   in Loop: Header=BB13_77 Depth=1
	s_and_not1_saveexec_b32 s10, s10
	s_cbranch_execnz .LBB13_185
.LBB13_111:                             ;   in Loop: Header=BB13_77 Depth=1
	s_or_b32 exec_lo, exec_lo, s10
	v_mov_b32_e32 v7, 0
	s_and_saveexec_b32 s10, s9
.LBB13_112:                             ;   in Loop: Header=BB13_77 Depth=1
	v_lshrrev_b32_e32 v7, 24, v11
	s_delay_alu instid0(VALU_DEP_1) | instskip(NEXT) | instid1(VALU_DEP_1)
	v_and_or_b32 v7, 0x80, v7, v12
	v_lshlrev_b32_e32 v7, 8, v7
.LBB13_113:                             ;   in Loop: Header=BB13_77 Depth=1
	s_or_b32 exec_lo, exec_lo, s10
.LBB13_114:                             ;   in Loop: Header=BB13_77 Depth=1
	s_delay_alu instid0(SALU_CYCLE_1) | instskip(SKIP_3) | instid1(VALU_DEP_2)
	s_or_b32 exec_lo, exec_lo, s8
	v_mul_f32_e32 v10, v8, v10
	v_alignbit_b32 v4, v5, v4, 16
	s_mov_b32 s8, exec_lo
	v_bfe_u32 v11, v10, 16, 1
	v_cmp_o_f32_e32 vcc_lo, v10, v10
	s_delay_alu instid0(VALU_DEP_3) | instskip(NEXT) | instid1(VALU_DEP_3)
	v_and_b32_e32 v4, 0xffff0000, v4
	v_add3_u32 v11, v10, v11, 0x7fff
	s_delay_alu instid0(VALU_DEP_1) | instskip(NEXT) | instid1(VALU_DEP_1)
	v_and_b32_e32 v11, 0xffff0000, v11
	v_cndmask_b32_e32 v10, 0x7fc00000, v11, vcc_lo
	s_delay_alu instid0(VALU_DEP_1) | instskip(NEXT) | instid1(VALU_DEP_1)
	v_mul_f32_e32 v4, v10, v4
	v_bfe_u32 v10, v4, 16, 1
	v_cmp_o_f32_e32 vcc_lo, v4, v4
	s_delay_alu instid0(VALU_DEP_2) | instskip(NEXT) | instid1(VALU_DEP_1)
	v_add3_u32 v10, v4, v10, 0x7fff
	v_and_b32_e32 v10, 0xffff0000, v10
	s_delay_alu instid0(VALU_DEP_1) | instskip(NEXT) | instid1(VALU_DEP_1)
	v_cndmask_b32_e32 v4, 0x7fc00000, v10, vcc_lo
	v_div_scale_f32 v10, null, v9, v9, v4
	v_div_scale_f32 v13, vcc_lo, v4, v9, v4
	s_delay_alu instid0(VALU_DEP_2) | instskip(SKIP_1) | instid1(TRANS32_DEP_1)
	v_rcp_f32_e32 v11, v10
	v_nop
	v_fma_f32 v12, -v10, v11, 1.0
	s_delay_alu instid0(VALU_DEP_1) | instskip(NEXT) | instid1(VALU_DEP_1)
	v_fmac_f32_e32 v11, v12, v11
	v_mul_f32_e32 v12, v13, v11
	s_delay_alu instid0(VALU_DEP_1) | instskip(NEXT) | instid1(VALU_DEP_1)
	v_fma_f32 v14, -v10, v12, v13
	v_fmac_f32_e32 v12, v14, v11
	s_delay_alu instid0(VALU_DEP_1) | instskip(NEXT) | instid1(VALU_DEP_1)
	v_fma_f32 v10, -v10, v12, v13
	v_div_fmas_f32 v10, v10, v11, v12
	s_delay_alu instid0(VALU_DEP_1) | instskip(SKIP_1) | instid1(VALU_DEP_2)
	v_div_fixup_f32 v4, v10, v9, v4
	v_mov_b32_e32 v10, 0x800000
	v_minmax_num_f32 v4, v4, s5, 0xc3600000
	s_delay_alu instid0(VALU_DEP_1) | instskip(NEXT) | instid1(VALU_DEP_1)
	v_and_b32_e32 v11, 0x7fffffff, v4
	v_cmpx_gt_u32_e32 0x43800000, v11
	s_cbranch_execz .LBB13_120
; %bb.115:                              ;   in Loop: Header=BB13_77 Depth=1
	v_cmp_lt_u32_e32 vcc_lo, 0x3bffffff, v11
	s_mov_b32 s9, 0
                                        ; implicit-def: $vgpr11
	s_and_saveexec_b32 s10, vcc_lo
	s_delay_alu instid0(SALU_CYCLE_1)
	s_xor_b32 s10, exec_lo, s10
	s_cbranch_execnz .LBB13_186
; %bb.116:                              ;   in Loop: Header=BB13_77 Depth=1
	s_and_not1_saveexec_b32 s10, s10
	s_cbranch_execnz .LBB13_187
.LBB13_117:                             ;   in Loop: Header=BB13_77 Depth=1
	s_or_b32 exec_lo, exec_lo, s10
	v_mov_b32_e32 v10, 0
	s_and_saveexec_b32 s10, s9
.LBB13_118:                             ;   in Loop: Header=BB13_77 Depth=1
	v_lshrrev_b32_e32 v4, 24, v4
	s_delay_alu instid0(VALU_DEP_1) | instskip(NEXT) | instid1(VALU_DEP_1)
	v_and_or_b32 v4, 0x80, v4, v11
	v_lshlrev_b32_e32 v10, 16, v4
.LBB13_119:                             ;   in Loop: Header=BB13_77 Depth=1
	s_or_b32 exec_lo, exec_lo, s10
.LBB13_120:                             ;   in Loop: Header=BB13_77 Depth=1
	s_delay_alu instid0(SALU_CYCLE_1) | instskip(SKIP_3) | instid1(VALU_DEP_2)
	s_or_b32 exec_lo, exec_lo, s8
	v_mul_f32_e32 v3, v8, v3
	v_and_b32_e32 v5, 0xffff0000, v5
	s_mov_b32 s8, exec_lo
	v_bfe_u32 v4, v3, 16, 1
	v_cmp_o_f32_e32 vcc_lo, v3, v3
	s_delay_alu instid0(VALU_DEP_2) | instskip(NEXT) | instid1(VALU_DEP_1)
	v_add3_u32 v4, v3, v4, 0x7fff
	v_and_b32_e32 v4, 0xffff0000, v4
	s_delay_alu instid0(VALU_DEP_1) | instskip(NEXT) | instid1(VALU_DEP_1)
	v_cndmask_b32_e32 v3, 0x7fc00000, v4, vcc_lo
	v_mul_f32_e32 v3, v3, v5
	s_delay_alu instid0(VALU_DEP_1) | instskip(SKIP_1) | instid1(VALU_DEP_2)
	v_bfe_u32 v4, v3, 16, 1
	v_cmp_o_f32_e32 vcc_lo, v3, v3
	v_add3_u32 v4, v3, v4, 0x7fff
	s_delay_alu instid0(VALU_DEP_1) | instskip(NEXT) | instid1(VALU_DEP_1)
	v_and_b32_e32 v4, 0xffff0000, v4
	v_cndmask_b32_e32 v3, 0x7fc00000, v4, vcc_lo
	s_delay_alu instid0(VALU_DEP_1) | instskip(SKIP_1) | instid1(VALU_DEP_2)
	v_div_scale_f32 v4, null, v9, v9, v3
	v_div_scale_f32 v12, vcc_lo, v3, v9, v3
	v_rcp_f32_e32 v5, v4
	v_nop
	s_delay_alu instid0(TRANS32_DEP_1) | instskip(NEXT) | instid1(VALU_DEP_1)
	v_fma_f32 v11, -v4, v5, 1.0
	v_fmac_f32_e32 v5, v11, v5
	s_delay_alu instid0(VALU_DEP_1) | instskip(NEXT) | instid1(VALU_DEP_1)
	v_mul_f32_e32 v11, v12, v5
	v_fma_f32 v13, -v4, v11, v12
	s_delay_alu instid0(VALU_DEP_1) | instskip(NEXT) | instid1(VALU_DEP_1)
	v_fmac_f32_e32 v11, v13, v5
	v_fma_f32 v4, -v4, v11, v12
	s_delay_alu instid0(VALU_DEP_1) | instskip(SKIP_1) | instid1(VALU_DEP_2)
	v_div_fmas_f32 v4, v4, v5, v11
	v_bfrev_b32_e32 v5, 1
	v_div_fixup_f32 v3, v4, v9, v3
	s_delay_alu instid0(VALU_DEP_1) | instskip(NEXT) | instid1(VALU_DEP_1)
	v_minmax_num_f32 v3, v3, s5, 0xc3600000
	v_and_b32_e32 v4, 0x7fffffff, v3
	s_delay_alu instid0(VALU_DEP_1)
	v_cmpx_gt_u32_e32 0x43800000, v4
	s_cbranch_execz .LBB13_126
; %bb.121:                              ;   in Loop: Header=BB13_77 Depth=1
	v_cmp_lt_u32_e32 vcc_lo, 0x3bffffff, v4
	s_mov_b32 s9, 0
                                        ; implicit-def: $vgpr4
	s_and_saveexec_b32 s10, vcc_lo
	s_delay_alu instid0(SALU_CYCLE_1)
	s_xor_b32 s10, exec_lo, s10
	s_cbranch_execnz .LBB13_188
; %bb.122:                              ;   in Loop: Header=BB13_77 Depth=1
	s_and_not1_saveexec_b32 s10, s10
	s_cbranch_execnz .LBB13_189
.LBB13_123:                             ;   in Loop: Header=BB13_77 Depth=1
	s_or_b32 exec_lo, exec_lo, s10
	v_mov_b32_e32 v5, 0
	s_and_saveexec_b32 s10, s9
.LBB13_124:                             ;   in Loop: Header=BB13_77 Depth=1
	v_and_b32_e32 v3, 0x80000000, v3
	s_delay_alu instid0(VALU_DEP_1)
	v_lshl_or_b32 v5, v4, 24, v3
.LBB13_125:                             ;   in Loop: Header=BB13_77 Depth=1
	s_or_b32 exec_lo, exec_lo, s10
.LBB13_126:                             ;   in Loop: Header=BB13_77 Depth=1
	s_delay_alu instid0(SALU_CYCLE_1) | instskip(SKIP_4) | instid1(VALU_DEP_2)
	s_or_b32 exec_lo, exec_lo, s8
	v_dual_mov_b32 v3, v1 :: v_dual_bitop2_b32 v11, v7, v6 bitop3:0x54
	v_add_nc_u32_e32 v4, s2, v0
	s_mov_b32 s9, -1
	s_mov_b32 s8, exec_lo
	v_lshl_add_u64 v[6:7], v[2:3], 2, s[0:1]
	v_or3_b32 v3, v11, v10, v5
	global_store_b32 v[6:7], v3, off
	s_wait_xcnt 0x0
	v_cmpx_gt_u32_e64 s11, v4
	s_cbranch_execz .LBB13_75
; %bb.127:                              ;   in Loop: Header=BB13_77 Depth=1
	s_clause 0x2
	global_load_b64 v[10:11], v4, s[12:13] scale_offset
	global_load_b64 v[12:13], v4, s[14:15] scale_offset
	;; [unrolled: 1-line block ×3, first 2 shown]
	s_mov_b32 s9, exec_lo
	s_wait_loadcnt 0x1
	v_dual_lshlrev_b32 v3, 16, v10 :: v_dual_lshlrev_b32 v5, 16, v12
	v_and_b32_e32 v17, 0xffff0000, v10
	v_alignbit_b32 v10, v11, v10, 16
	s_wait_loadcnt 0x0
	s_delay_alu instid0(VALU_DEP_3) | instskip(NEXT) | instid1(VALU_DEP_2)
	v_dual_lshlrev_b32 v15, 16, v6 :: v_dual_add_f32 v3, v3, v5
	v_and_b32_e32 v20, 0xffff0000, v10
	s_delay_alu instid0(VALU_DEP_2) | instskip(NEXT) | instid1(VALU_DEP_1)
	v_mul_f32_e32 v5, v8, v3
	v_bfe_u32 v14, v5, 16, 1
	v_cmp_o_f32_e32 vcc_lo, v5, v5
	s_delay_alu instid0(VALU_DEP_2) | instskip(NEXT) | instid1(VALU_DEP_1)
	v_add3_u32 v14, v5, v14, 0x7fff
	v_and_b32_e32 v14, 0xffff0000, v14
	s_delay_alu instid0(VALU_DEP_1) | instskip(NEXT) | instid1(VALU_DEP_1)
	v_cndmask_b32_e32 v5, 0x7fc00000, v14, vcc_lo
	v_mul_f32_e32 v5, v5, v15
	s_delay_alu instid0(VALU_DEP_1) | instskip(SKIP_1) | instid1(VALU_DEP_2)
	v_bfe_u32 v14, v5, 16, 1
	v_cmp_o_f32_e32 vcc_lo, v5, v5
	v_add3_u32 v14, v5, v14, 0x7fff
	s_delay_alu instid0(VALU_DEP_1) | instskip(NEXT) | instid1(VALU_DEP_1)
	v_and_b32_e32 v14, 0xffff0000, v14
	v_cndmask_b32_e32 v14, 0x7fc00000, v14, vcc_lo
	s_delay_alu instid0(VALU_DEP_1) | instskip(SKIP_1) | instid1(VALU_DEP_2)
	v_div_scale_f32 v15, null, v9, v9, v14
	v_div_scale_f32 v18, vcc_lo, v14, v9, v14
	v_rcp_f32_e32 v16, v15
	v_nop
	s_delay_alu instid0(TRANS32_DEP_1) | instskip(NEXT) | instid1(VALU_DEP_1)
	v_fma_f32 v5, -v15, v16, 1.0
	v_fmac_f32_e32 v16, v5, v16
	v_and_b32_e32 v5, 0xffff0000, v11
	v_alignbit_b32 v11, v13, v12, 16
	v_and_b32_e32 v12, 0xffff0000, v12
	v_and_b32_e32 v13, 0xffff0000, v13
	v_mul_f32_e32 v19, v18, v16
	s_delay_alu instid0(VALU_DEP_4) | instskip(NEXT) | instid1(VALU_DEP_4)
	v_and_b32_e32 v11, 0xffff0000, v11
	v_add_f32_e32 v10, v17, v12
	s_delay_alu instid0(VALU_DEP_3) | instskip(SKIP_1) | instid1(VALU_DEP_4)
	v_dual_add_f32 v5, v5, v13 :: v_dual_fma_f32 v12, -v15, v19, v18
	v_bfe_u32 v13, v3, 16, 1
	v_add_f32_e32 v11, v20, v11
	s_delay_alu instid0(VALU_DEP_4) | instskip(NEXT) | instid1(VALU_DEP_3)
	v_bfe_u32 v17, v10, 16, 1
	v_add3_u32 v13, v3, v13, 0x7fff
	v_fmac_f32_e32 v19, v12, v16
	s_delay_alu instid0(VALU_DEP_4) | instskip(SKIP_2) | instid1(VALU_DEP_4)
	v_bfe_u32 v20, v11, 16, 1
	v_bfe_u32 v12, v5, 16, 1
	v_add3_u32 v17, v10, v17, 0x7fff
	v_dual_lshrrev_b32 v13, 16, v13 :: v_dual_fma_f32 v15, -v15, v19, v18
	s_delay_alu instid0(VALU_DEP_4) | instskip(NEXT) | instid1(VALU_DEP_4)
	v_add3_u32 v18, v11, v20, 0x7fff
	v_add3_u32 v12, v5, v12, 0x7fff
	s_delay_alu instid0(VALU_DEP_2) | instskip(NEXT) | instid1(VALU_DEP_4)
	v_lshrrev_b32_e32 v18, 16, v18
	v_div_fmas_f32 v15, v15, v16, v19
	v_and_b32_e32 v16, 0xffff0000, v17
	v_cmp_o_f32_e32 vcc_lo, v10, v10
	v_and_b32_e32 v17, 0xffff0000, v12
	s_delay_alu instid0(VALU_DEP_4) | instskip(NEXT) | instid1(VALU_DEP_4)
	v_div_fixup_f32 v12, v15, v9, v14
	v_cndmask_b32_e32 v14, 0x7fc00000, v16, vcc_lo
	v_cmp_o_f32_e32 vcc_lo, v3, v3
	s_delay_alu instid0(VALU_DEP_3) | instskip(SKIP_2) | instid1(VALU_DEP_3)
	v_minmax_num_f32 v12, v12, s5, 0xc3600000
	v_cndmask_b32_e32 v3, 0x7fc0, v13, vcc_lo
	v_cmp_o_f32_e32 vcc_lo, v5, v5
	v_and_b32_e32 v13, 0x7fffffff, v12
	s_delay_alu instid0(VALU_DEP_3) | instskip(SKIP_2) | instid1(VALU_DEP_3)
	v_or_b32_e32 v3, v3, v14
	v_cndmask_b32_e32 v15, 0x7fc00000, v17, vcc_lo
	v_cmp_o_f32_e32 vcc_lo, v11, v11
	v_or3_b32 v14, v3, 0, 0
	v_mov_b32_e32 v3, 0x80
	v_cndmask_b32_e32 v16, 0x7fc0, v18, vcc_lo
	s_delay_alu instid0(VALU_DEP_1)
	v_or3_b32 v15, 0, v16, v15
	global_store_b64 v4, v[14:15], s[14:15] scale_offset
	s_wait_xcnt 0x0
	v_cmpx_gt_u32_e32 0x43800000, v13
	s_cbranch_execz .LBB13_133
; %bb.128:                              ;   in Loop: Header=BB13_77 Depth=1
	v_cmp_lt_u32_e32 vcc_lo, 0x3bffffff, v13
	s_mov_b32 s10, 0
                                        ; implicit-def: $vgpr13
	s_and_saveexec_b32 s16, vcc_lo
	s_delay_alu instid0(SALU_CYCLE_1)
	s_xor_b32 s16, exec_lo, s16
	s_cbranch_execnz .LBB13_190
; %bb.129:                              ;   in Loop: Header=BB13_77 Depth=1
	s_and_not1_saveexec_b32 s16, s16
	s_cbranch_execnz .LBB13_191
.LBB13_130:                             ;   in Loop: Header=BB13_77 Depth=1
	s_or_b32 exec_lo, exec_lo, s16
	v_mov_b32_e32 v3, 0
	s_and_saveexec_b32 s16, s10
.LBB13_131:                             ;   in Loop: Header=BB13_77 Depth=1
	v_lshrrev_b32_e32 v3, 24, v12
	s_delay_alu instid0(VALU_DEP_1)
	v_and_or_b32 v3, 0x80, v3, v13
.LBB13_132:                             ;   in Loop: Header=BB13_77 Depth=1
	s_or_b32 exec_lo, exec_lo, s16
.LBB13_133:                             ;   in Loop: Header=BB13_77 Depth=1
	s_delay_alu instid0(SALU_CYCLE_1) | instskip(SKIP_3) | instid1(VALU_DEP_2)
	s_or_b32 exec_lo, exec_lo, s9
	v_mul_f32_e32 v10, v8, v10
	v_and_b32_e32 v13, 0xffff0000, v6
	s_mov_b32 s9, exec_lo
	v_bfe_u32 v12, v10, 16, 1
	v_cmp_o_f32_e32 vcc_lo, v10, v10
	s_delay_alu instid0(VALU_DEP_2) | instskip(NEXT) | instid1(VALU_DEP_1)
	v_add3_u32 v12, v10, v12, 0x7fff
	v_and_b32_e32 v12, 0xffff0000, v12
	s_delay_alu instid0(VALU_DEP_1) | instskip(NEXT) | instid1(VALU_DEP_1)
	v_cndmask_b32_e32 v10, 0x7fc00000, v12, vcc_lo
	v_mul_f32_e32 v10, v10, v13
	s_delay_alu instid0(VALU_DEP_1) | instskip(SKIP_1) | instid1(VALU_DEP_2)
	v_bfe_u32 v12, v10, 16, 1
	v_cmp_o_f32_e32 vcc_lo, v10, v10
	v_add3_u32 v12, v10, v12, 0x7fff
	s_delay_alu instid0(VALU_DEP_1) | instskip(NEXT) | instid1(VALU_DEP_1)
	v_and_b32_e32 v12, 0xffff0000, v12
	v_cndmask_b32_e32 v10, 0x7fc00000, v12, vcc_lo
	s_delay_alu instid0(VALU_DEP_1) | instskip(SKIP_1) | instid1(VALU_DEP_2)
	v_div_scale_f32 v12, null, v9, v9, v10
	v_div_scale_f32 v15, vcc_lo, v10, v9, v10
	v_rcp_f32_e32 v13, v12
	v_nop
	s_delay_alu instid0(TRANS32_DEP_1) | instskip(NEXT) | instid1(VALU_DEP_1)
	v_fma_f32 v14, -v12, v13, 1.0
	v_fmac_f32_e32 v13, v14, v13
	s_delay_alu instid0(VALU_DEP_1) | instskip(NEXT) | instid1(VALU_DEP_1)
	v_mul_f32_e32 v14, v15, v13
	v_fma_f32 v16, -v12, v14, v15
	s_delay_alu instid0(VALU_DEP_1) | instskip(NEXT) | instid1(VALU_DEP_1)
	v_fmac_f32_e32 v14, v16, v13
	v_fma_f32 v12, -v12, v14, v15
	s_delay_alu instid0(VALU_DEP_1) | instskip(NEXT) | instid1(VALU_DEP_1)
	v_div_fmas_f32 v12, v12, v13, v14
	v_div_fixup_f32 v10, v12, v9, v10
	s_delay_alu instid0(VALU_DEP_1) | instskip(SKIP_1) | instid1(VALU_DEP_2)
	v_minmax_num_f32 v12, v10, s5, 0xc3600000
	v_mov_b32_e32 v10, 0x8000
	v_and_b32_e32 v13, 0x7fffffff, v12
	s_delay_alu instid0(VALU_DEP_1)
	v_cmpx_gt_u32_e32 0x43800000, v13
	s_cbranch_execz .LBB13_139
; %bb.134:                              ;   in Loop: Header=BB13_77 Depth=1
	v_cmp_lt_u32_e32 vcc_lo, 0x3bffffff, v13
	s_mov_b32 s10, 0
                                        ; implicit-def: $vgpr13
	s_and_saveexec_b32 s16, vcc_lo
	s_delay_alu instid0(SALU_CYCLE_1)
	s_xor_b32 s16, exec_lo, s16
	s_cbranch_execnz .LBB13_192
; %bb.135:                              ;   in Loop: Header=BB13_77 Depth=1
	s_and_not1_saveexec_b32 s16, s16
	s_cbranch_execnz .LBB13_193
.LBB13_136:                             ;   in Loop: Header=BB13_77 Depth=1
	s_or_b32 exec_lo, exec_lo, s16
	v_mov_b32_e32 v10, 0
	s_and_saveexec_b32 s16, s10
.LBB13_137:                             ;   in Loop: Header=BB13_77 Depth=1
	v_lshrrev_b32_e32 v10, 24, v12
	s_delay_alu instid0(VALU_DEP_1) | instskip(NEXT) | instid1(VALU_DEP_1)
	v_and_or_b32 v10, 0x80, v10, v13
	v_lshlrev_b32_e32 v10, 8, v10
.LBB13_138:                             ;   in Loop: Header=BB13_77 Depth=1
	s_or_b32 exec_lo, exec_lo, s16
.LBB13_139:                             ;   in Loop: Header=BB13_77 Depth=1
	s_delay_alu instid0(SALU_CYCLE_1) | instskip(SKIP_3) | instid1(VALU_DEP_2)
	s_or_b32 exec_lo, exec_lo, s9
	v_mul_f32_e32 v11, v8, v11
	v_alignbit_b32 v6, v7, v6, 16
	s_mov_b32 s9, exec_lo
	v_bfe_u32 v12, v11, 16, 1
	v_cmp_o_f32_e32 vcc_lo, v11, v11
	s_delay_alu instid0(VALU_DEP_3) | instskip(NEXT) | instid1(VALU_DEP_3)
	v_and_b32_e32 v6, 0xffff0000, v6
	v_add3_u32 v12, v11, v12, 0x7fff
	s_delay_alu instid0(VALU_DEP_1) | instskip(NEXT) | instid1(VALU_DEP_1)
	v_and_b32_e32 v12, 0xffff0000, v12
	v_cndmask_b32_e32 v11, 0x7fc00000, v12, vcc_lo
	s_delay_alu instid0(VALU_DEP_1) | instskip(NEXT) | instid1(VALU_DEP_1)
	v_mul_f32_e32 v6, v11, v6
	v_bfe_u32 v11, v6, 16, 1
	v_cmp_o_f32_e32 vcc_lo, v6, v6
	s_delay_alu instid0(VALU_DEP_2) | instskip(NEXT) | instid1(VALU_DEP_1)
	v_add3_u32 v11, v6, v11, 0x7fff
	v_and_b32_e32 v11, 0xffff0000, v11
	s_delay_alu instid0(VALU_DEP_1) | instskip(NEXT) | instid1(VALU_DEP_1)
	v_cndmask_b32_e32 v6, 0x7fc00000, v11, vcc_lo
	v_div_scale_f32 v11, null, v9, v9, v6
	v_div_scale_f32 v14, vcc_lo, v6, v9, v6
	s_delay_alu instid0(VALU_DEP_2) | instskip(SKIP_1) | instid1(TRANS32_DEP_1)
	v_rcp_f32_e32 v12, v11
	v_nop
	v_fma_f32 v13, -v11, v12, 1.0
	s_delay_alu instid0(VALU_DEP_1) | instskip(NEXT) | instid1(VALU_DEP_1)
	v_fmac_f32_e32 v12, v13, v12
	v_mul_f32_e32 v13, v14, v12
	s_delay_alu instid0(VALU_DEP_1) | instskip(NEXT) | instid1(VALU_DEP_1)
	v_fma_f32 v15, -v11, v13, v14
	v_fmac_f32_e32 v13, v15, v12
	s_delay_alu instid0(VALU_DEP_1) | instskip(NEXT) | instid1(VALU_DEP_1)
	v_fma_f32 v11, -v11, v13, v14
	v_div_fmas_f32 v11, v11, v12, v13
	s_delay_alu instid0(VALU_DEP_1) | instskip(NEXT) | instid1(VALU_DEP_1)
	v_div_fixup_f32 v6, v11, v9, v6
	v_minmax_num_f32 v11, v6, s5, 0xc3600000
	v_mov_b32_e32 v6, 0x800000
	s_delay_alu instid0(VALU_DEP_2) | instskip(NEXT) | instid1(VALU_DEP_1)
	v_and_b32_e32 v12, 0x7fffffff, v11
	v_cmpx_gt_u32_e32 0x43800000, v12
	s_cbranch_execz .LBB13_145
; %bb.140:                              ;   in Loop: Header=BB13_77 Depth=1
	v_cmp_lt_u32_e32 vcc_lo, 0x3bffffff, v12
	s_mov_b32 s10, 0
                                        ; implicit-def: $vgpr12
	s_and_saveexec_b32 s16, vcc_lo
	s_delay_alu instid0(SALU_CYCLE_1)
	s_xor_b32 s16, exec_lo, s16
	s_cbranch_execnz .LBB13_194
; %bb.141:                              ;   in Loop: Header=BB13_77 Depth=1
	s_and_not1_saveexec_b32 s16, s16
	s_cbranch_execnz .LBB13_195
.LBB13_142:                             ;   in Loop: Header=BB13_77 Depth=1
	s_or_b32 exec_lo, exec_lo, s16
	v_mov_b32_e32 v6, 0
	s_and_saveexec_b32 s16, s10
.LBB13_143:                             ;   in Loop: Header=BB13_77 Depth=1
	v_lshrrev_b32_e32 v6, 24, v11
	s_delay_alu instid0(VALU_DEP_1) | instskip(NEXT) | instid1(VALU_DEP_1)
	v_and_or_b32 v6, 0x80, v6, v12
	v_lshlrev_b32_e32 v6, 16, v6
.LBB13_144:                             ;   in Loop: Header=BB13_77 Depth=1
	s_or_b32 exec_lo, exec_lo, s16
.LBB13_145:                             ;   in Loop: Header=BB13_77 Depth=1
	s_delay_alu instid0(SALU_CYCLE_1) | instskip(SKIP_3) | instid1(VALU_DEP_2)
	s_or_b32 exec_lo, exec_lo, s9
	v_mul_f32_e32 v5, v8, v5
	v_and_b32_e32 v7, 0xffff0000, v7
	s_mov_b32 s9, exec_lo
	v_bfe_u32 v11, v5, 16, 1
	v_cmp_o_f32_e32 vcc_lo, v5, v5
	s_delay_alu instid0(VALU_DEP_2) | instskip(NEXT) | instid1(VALU_DEP_1)
	v_add3_u32 v11, v5, v11, 0x7fff
	v_and_b32_e32 v11, 0xffff0000, v11
	s_delay_alu instid0(VALU_DEP_1) | instskip(NEXT) | instid1(VALU_DEP_1)
	v_cndmask_b32_e32 v5, 0x7fc00000, v11, vcc_lo
	v_mul_f32_e32 v5, v5, v7
	s_delay_alu instid0(VALU_DEP_1) | instskip(SKIP_1) | instid1(VALU_DEP_2)
	v_bfe_u32 v7, v5, 16, 1
	v_cmp_o_f32_e32 vcc_lo, v5, v5
	v_add3_u32 v7, v5, v7, 0x7fff
	s_delay_alu instid0(VALU_DEP_1) | instskip(NEXT) | instid1(VALU_DEP_1)
	v_and_b32_e32 v7, 0xffff0000, v7
	v_cndmask_b32_e32 v5, 0x7fc00000, v7, vcc_lo
	s_delay_alu instid0(VALU_DEP_1) | instskip(SKIP_1) | instid1(VALU_DEP_2)
	v_div_scale_f32 v7, null, v9, v9, v5
	v_div_scale_f32 v13, vcc_lo, v5, v9, v5
	v_rcp_f32_e32 v11, v7
	v_nop
	s_delay_alu instid0(TRANS32_DEP_1) | instskip(NEXT) | instid1(VALU_DEP_1)
	v_fma_f32 v12, -v7, v11, 1.0
	v_fmac_f32_e32 v11, v12, v11
	s_delay_alu instid0(VALU_DEP_1) | instskip(NEXT) | instid1(VALU_DEP_1)
	v_mul_f32_e32 v12, v13, v11
	v_fma_f32 v14, -v7, v12, v13
	s_delay_alu instid0(VALU_DEP_1) | instskip(NEXT) | instid1(VALU_DEP_1)
	v_fmac_f32_e32 v12, v14, v11
	v_fma_f32 v7, -v7, v12, v13
	s_delay_alu instid0(VALU_DEP_1) | instskip(SKIP_1) | instid1(VALU_DEP_2)
	v_div_fmas_f32 v7, v7, v11, v12
	v_bfrev_b32_e32 v11, 1
	v_div_fixup_f32 v5, v7, v9, v5
	s_delay_alu instid0(VALU_DEP_1) | instskip(NEXT) | instid1(VALU_DEP_1)
	v_minmax_num_f32 v5, v5, s5, 0xc3600000
	v_and_b32_e32 v7, 0x7fffffff, v5
	s_delay_alu instid0(VALU_DEP_1)
	v_cmpx_gt_u32_e32 0x43800000, v7
	s_cbranch_execz .LBB13_151
; %bb.146:                              ;   in Loop: Header=BB13_77 Depth=1
	v_cmp_lt_u32_e32 vcc_lo, 0x3bffffff, v7
	s_mov_b32 s10, 0
                                        ; implicit-def: $vgpr7
	s_and_saveexec_b32 s16, vcc_lo
	s_delay_alu instid0(SALU_CYCLE_1)
	s_xor_b32 s16, exec_lo, s16
	s_cbranch_execnz .LBB13_196
; %bb.147:                              ;   in Loop: Header=BB13_77 Depth=1
	s_and_not1_saveexec_b32 s16, s16
	s_cbranch_execnz .LBB13_197
.LBB13_148:                             ;   in Loop: Header=BB13_77 Depth=1
	s_or_b32 exec_lo, exec_lo, s16
	v_mov_b32_e32 v11, 0
	s_and_saveexec_b32 s16, s10
.LBB13_149:                             ;   in Loop: Header=BB13_77 Depth=1
	v_and_b32_e32 v5, 0x80000000, v5
	s_delay_alu instid0(VALU_DEP_1)
	v_lshl_or_b32 v11, v7, 24, v5
.LBB13_150:                             ;   in Loop: Header=BB13_77 Depth=1
	s_or_b32 exec_lo, exec_lo, s16
.LBB13_151:                             ;   in Loop: Header=BB13_77 Depth=1
	s_delay_alu instid0(SALU_CYCLE_1) | instskip(SKIP_4) | instid1(VALU_DEP_2)
	s_or_b32 exec_lo, exec_lo, s9
	v_dual_mov_b32 v5, v1 :: v_dual_bitop2_b32 v3, v10, v3 bitop3:0x54
	v_add_nc_u32_e32 v0, s3, v0
	s_mov_b32 s10, -1
	s_mov_b32 s9, exec_lo
	v_lshl_add_u64 v[4:5], v[4:5], 2, s[0:1]
	v_or3_b32 v3, v3, v6, v11
	global_store_b32 v[4:5], v3, off
	s_wait_xcnt 0x0
	v_cmpx_gt_u32_e64 s11, v0
	s_cbranch_execz .LBB13_74
; %bb.152:                              ;   in Loop: Header=BB13_77 Depth=1
	s_clause 0x2
	global_load_b64 v[6:7], v0, s[12:13] scale_offset
	global_load_b64 v[10:11], v0, s[14:15] scale_offset
	;; [unrolled: 1-line block ×3, first 2 shown]
	s_mov_b32 s10, exec_lo
	s_wait_loadcnt 0x2
	v_lshlrev_b32_e32 v3, 16, v6
	v_and_b32_e32 v16, 0xffff0000, v6
	s_wait_loadcnt 0x0
	v_dual_lshlrev_b32 v12, 16, v10 :: v_dual_lshlrev_b32 v14, 16, v4
	v_alignbit_b32 v6, v7, v6, 16
	s_delay_alu instid0(VALU_DEP_2) | instskip(NEXT) | instid1(VALU_DEP_2)
	v_add_f32_e32 v3, v3, v12
	v_and_b32_e32 v19, 0xffff0000, v6
	s_delay_alu instid0(VALU_DEP_2) | instskip(NEXT) | instid1(VALU_DEP_1)
	v_mul_f32_e32 v12, v8, v3
	v_bfe_u32 v13, v12, 16, 1
	v_cmp_o_f32_e32 vcc_lo, v12, v12
	s_delay_alu instid0(VALU_DEP_2) | instskip(NEXT) | instid1(VALU_DEP_1)
	v_add3_u32 v13, v12, v13, 0x7fff
	v_and_b32_e32 v13, 0xffff0000, v13
	s_delay_alu instid0(VALU_DEP_1) | instskip(NEXT) | instid1(VALU_DEP_1)
	v_cndmask_b32_e32 v12, 0x7fc00000, v13, vcc_lo
	v_mul_f32_e32 v12, v12, v14
	s_delay_alu instid0(VALU_DEP_1) | instskip(SKIP_1) | instid1(VALU_DEP_2)
	v_bfe_u32 v13, v12, 16, 1
	v_cmp_o_f32_e32 vcc_lo, v12, v12
	v_add3_u32 v13, v12, v13, 0x7fff
	s_delay_alu instid0(VALU_DEP_1) | instskip(NEXT) | instid1(VALU_DEP_1)
	v_and_b32_e32 v13, 0xffff0000, v13
	v_cndmask_b32_e32 v12, 0x7fc00000, v13, vcc_lo
	s_delay_alu instid0(VALU_DEP_1) | instskip(NEXT) | instid1(VALU_DEP_1)
	v_div_scale_f32 v13, null, v9, v9, v12
	v_rcp_f32_e32 v14, v13
	v_nop
	s_delay_alu instid0(TRANS32_DEP_1) | instskip(NEXT) | instid1(VALU_DEP_1)
	v_fma_f32 v15, -v13, v14, 1.0
	v_fmac_f32_e32 v14, v15, v14
	v_and_b32_e32 v15, 0xffff0000, v7
	v_alignbit_b32 v7, v11, v10, 16
	v_and_b32_e32 v11, 0xffff0000, v11
	v_and_b32_e32 v10, 0xffff0000, v10
	s_delay_alu instid0(VALU_DEP_3) | instskip(NEXT) | instid1(VALU_DEP_3)
	v_and_b32_e32 v20, 0xffff0000, v7
	v_add_f32_e32 v6, v15, v11
	v_bfe_u32 v11, v3, 16, 1
	s_delay_alu instid0(VALU_DEP_3) | instskip(NEXT) | instid1(VALU_DEP_2)
	v_dual_add_f32 v7, v16, v10 :: v_dual_add_f32 v10, v19, v20
	v_add3_u32 v11, v3, v11, 0x7fff
	s_delay_alu instid0(VALU_DEP_2) | instskip(NEXT) | instid1(VALU_DEP_3)
	v_bfe_u32 v15, v7, 16, 1
	v_bfe_u32 v19, v10, 16, 1
	s_delay_alu instid0(VALU_DEP_3) | instskip(SKIP_1) | instid1(VALU_DEP_4)
	v_lshrrev_b32_e32 v11, 16, v11
	v_div_scale_f32 v17, vcc_lo, v12, v9, v12
	v_add3_u32 v15, v7, v15, 0x7fff
	s_delay_alu instid0(VALU_DEP_2) | instskip(NEXT) | instid1(VALU_DEP_1)
	v_mul_f32_e32 v18, v17, v14
	v_fma_f32 v16, -v13, v18, v17
	s_delay_alu instid0(VALU_DEP_1) | instskip(SKIP_1) | instid1(VALU_DEP_2)
	v_fmac_f32_e32 v18, v16, v14
	v_bfe_u32 v16, v6, 16, 1
	v_fma_f32 v13, -v13, v18, v17
	s_delay_alu instid0(VALU_DEP_2) | instskip(SKIP_1) | instid1(VALU_DEP_3)
	v_add3_u32 v16, v6, v16, 0x7fff
	v_add3_u32 v17, v10, v19, 0x7fff
	v_div_fmas_f32 v13, v13, v14, v18
	v_and_b32_e32 v14, 0xffff0000, v15
	v_cmp_o_f32_e32 vcc_lo, v7, v7
	v_and_b32_e32 v15, 0xffff0000, v16
	v_lshrrev_b32_e32 v16, 16, v17
	v_div_fixup_f32 v12, v13, v9, v12
	v_cndmask_b32_e32 v13, 0x7fc00000, v14, vcc_lo
	v_cmp_o_f32_e32 vcc_lo, v3, v3
	v_cndmask_b32_e32 v3, 0x7fc0, v11, vcc_lo
	v_cmp_o_f32_e32 vcc_lo, v6, v6
	v_minmax_num_f32 v11, v12, s5, 0xc3600000
	s_delay_alu instid0(VALU_DEP_3) | instskip(SKIP_2) | instid1(VALU_DEP_4)
	v_or_b32_e32 v3, v3, v13
	v_cndmask_b32_e32 v14, 0x7fc00000, v15, vcc_lo
	v_cmp_o_f32_e32 vcc_lo, v10, v10
	v_and_b32_e32 v12, 0x7fffffff, v11
	v_cndmask_b32_e32 v15, 0x7fc0, v16, vcc_lo
	s_delay_alu instid0(VALU_DEP_1)
	v_or3_b32 v15, 0, v15, v14
	v_or3_b32 v14, v3, 0, 0
	v_mov_b32_e32 v3, 0x80
	global_store_b64 v0, v[14:15], s[14:15] scale_offset
	s_wait_xcnt 0x0
	v_cmpx_gt_u32_e32 0x43800000, v12
	s_cbranch_execz .LBB13_158
; %bb.153:                              ;   in Loop: Header=BB13_77 Depth=1
	v_cmp_lt_u32_e32 vcc_lo, 0x3bffffff, v12
	s_mov_b32 s16, 0
                                        ; implicit-def: $vgpr12
	s_and_saveexec_b32 s17, vcc_lo
	s_delay_alu instid0(SALU_CYCLE_1)
	s_xor_b32 s17, exec_lo, s17
	s_cbranch_execnz .LBB13_198
; %bb.154:                              ;   in Loop: Header=BB13_77 Depth=1
	s_and_not1_saveexec_b32 s17, s17
	s_cbranch_execnz .LBB13_199
.LBB13_155:                             ;   in Loop: Header=BB13_77 Depth=1
	s_or_b32 exec_lo, exec_lo, s17
	v_mov_b32_e32 v3, 0
	s_and_saveexec_b32 s17, s16
.LBB13_156:                             ;   in Loop: Header=BB13_77 Depth=1
	v_lshrrev_b32_e32 v3, 24, v11
	s_delay_alu instid0(VALU_DEP_1)
	v_and_or_b32 v3, 0x80, v3, v12
.LBB13_157:                             ;   in Loop: Header=BB13_77 Depth=1
	s_or_b32 exec_lo, exec_lo, s17
.LBB13_158:                             ;   in Loop: Header=BB13_77 Depth=1
	s_delay_alu instid0(SALU_CYCLE_1) | instskip(SKIP_3) | instid1(VALU_DEP_2)
	s_or_b32 exec_lo, exec_lo, s10
	v_mul_f32_e32 v7, v8, v7
	v_and_b32_e32 v12, 0xffff0000, v4
	s_mov_b32 s10, exec_lo
	v_bfe_u32 v11, v7, 16, 1
	v_cmp_o_f32_e32 vcc_lo, v7, v7
	s_delay_alu instid0(VALU_DEP_2) | instskip(NEXT) | instid1(VALU_DEP_1)
	v_add3_u32 v11, v7, v11, 0x7fff
	v_and_b32_e32 v11, 0xffff0000, v11
	s_delay_alu instid0(VALU_DEP_1) | instskip(NEXT) | instid1(VALU_DEP_1)
	v_cndmask_b32_e32 v7, 0x7fc00000, v11, vcc_lo
	v_mul_f32_e32 v7, v7, v12
	s_delay_alu instid0(VALU_DEP_1) | instskip(SKIP_1) | instid1(VALU_DEP_2)
	v_bfe_u32 v11, v7, 16, 1
	v_cmp_o_f32_e32 vcc_lo, v7, v7
	v_add3_u32 v11, v7, v11, 0x7fff
	s_delay_alu instid0(VALU_DEP_1) | instskip(NEXT) | instid1(VALU_DEP_1)
	v_and_b32_e32 v11, 0xffff0000, v11
	v_cndmask_b32_e32 v7, 0x7fc00000, v11, vcc_lo
	s_delay_alu instid0(VALU_DEP_1) | instskip(SKIP_1) | instid1(VALU_DEP_2)
	v_div_scale_f32 v11, null, v9, v9, v7
	v_div_scale_f32 v14, vcc_lo, v7, v9, v7
	v_rcp_f32_e32 v12, v11
	v_nop
	s_delay_alu instid0(TRANS32_DEP_1) | instskip(NEXT) | instid1(VALU_DEP_1)
	v_fma_f32 v13, -v11, v12, 1.0
	v_fmac_f32_e32 v12, v13, v12
	s_delay_alu instid0(VALU_DEP_1) | instskip(NEXT) | instid1(VALU_DEP_1)
	v_mul_f32_e32 v13, v14, v12
	v_fma_f32 v15, -v11, v13, v14
	s_delay_alu instid0(VALU_DEP_1) | instskip(NEXT) | instid1(VALU_DEP_1)
	v_fmac_f32_e32 v13, v15, v12
	v_fma_f32 v11, -v11, v13, v14
	s_delay_alu instid0(VALU_DEP_1) | instskip(NEXT) | instid1(VALU_DEP_1)
	v_div_fmas_f32 v11, v11, v12, v13
	v_div_fixup_f32 v7, v11, v9, v7
	s_delay_alu instid0(VALU_DEP_1) | instskip(SKIP_1) | instid1(VALU_DEP_2)
	v_minmax_num_f32 v11, v7, s5, 0xc3600000
	v_mov_b32_e32 v7, 0x8000
	v_and_b32_e32 v12, 0x7fffffff, v11
	s_delay_alu instid0(VALU_DEP_1)
	v_cmpx_gt_u32_e32 0x43800000, v12
	s_cbranch_execz .LBB13_164
; %bb.159:                              ;   in Loop: Header=BB13_77 Depth=1
	v_cmp_lt_u32_e32 vcc_lo, 0x3bffffff, v12
	s_mov_b32 s16, 0
                                        ; implicit-def: $vgpr12
	s_and_saveexec_b32 s17, vcc_lo
	s_delay_alu instid0(SALU_CYCLE_1)
	s_xor_b32 s17, exec_lo, s17
	s_cbranch_execnz .LBB13_200
; %bb.160:                              ;   in Loop: Header=BB13_77 Depth=1
	s_and_not1_saveexec_b32 s17, s17
	s_cbranch_execnz .LBB13_201
.LBB13_161:                             ;   in Loop: Header=BB13_77 Depth=1
	s_or_b32 exec_lo, exec_lo, s17
	v_mov_b32_e32 v7, 0
	s_and_saveexec_b32 s17, s16
.LBB13_162:                             ;   in Loop: Header=BB13_77 Depth=1
	v_lshrrev_b32_e32 v7, 24, v11
	s_delay_alu instid0(VALU_DEP_1) | instskip(NEXT) | instid1(VALU_DEP_1)
	v_and_or_b32 v7, 0x80, v7, v12
	v_lshlrev_b32_e32 v7, 8, v7
.LBB13_163:                             ;   in Loop: Header=BB13_77 Depth=1
	s_or_b32 exec_lo, exec_lo, s17
.LBB13_164:                             ;   in Loop: Header=BB13_77 Depth=1
	s_delay_alu instid0(SALU_CYCLE_1) | instskip(SKIP_3) | instid1(VALU_DEP_2)
	s_or_b32 exec_lo, exec_lo, s10
	v_mul_f32_e32 v10, v8, v10
	v_alignbit_b32 v4, v5, v4, 16
	s_mov_b32 s10, exec_lo
	v_bfe_u32 v11, v10, 16, 1
	v_cmp_o_f32_e32 vcc_lo, v10, v10
	s_delay_alu instid0(VALU_DEP_3) | instskip(NEXT) | instid1(VALU_DEP_3)
	v_and_b32_e32 v4, 0xffff0000, v4
	v_add3_u32 v11, v10, v11, 0x7fff
	s_delay_alu instid0(VALU_DEP_1) | instskip(NEXT) | instid1(VALU_DEP_1)
	v_and_b32_e32 v11, 0xffff0000, v11
	v_cndmask_b32_e32 v10, 0x7fc00000, v11, vcc_lo
	s_delay_alu instid0(VALU_DEP_1) | instskip(NEXT) | instid1(VALU_DEP_1)
	v_mul_f32_e32 v4, v10, v4
	v_bfe_u32 v10, v4, 16, 1
	v_cmp_o_f32_e32 vcc_lo, v4, v4
	s_delay_alu instid0(VALU_DEP_2) | instskip(NEXT) | instid1(VALU_DEP_1)
	v_add3_u32 v10, v4, v10, 0x7fff
	v_and_b32_e32 v10, 0xffff0000, v10
	s_delay_alu instid0(VALU_DEP_1) | instskip(NEXT) | instid1(VALU_DEP_1)
	v_cndmask_b32_e32 v4, 0x7fc00000, v10, vcc_lo
	v_div_scale_f32 v10, null, v9, v9, v4
	v_div_scale_f32 v13, vcc_lo, v4, v9, v4
	s_delay_alu instid0(VALU_DEP_2) | instskip(SKIP_1) | instid1(TRANS32_DEP_1)
	v_rcp_f32_e32 v11, v10
	v_nop
	v_fma_f32 v12, -v10, v11, 1.0
	s_delay_alu instid0(VALU_DEP_1) | instskip(NEXT) | instid1(VALU_DEP_1)
	v_fmac_f32_e32 v11, v12, v11
	v_mul_f32_e32 v12, v13, v11
	s_delay_alu instid0(VALU_DEP_1) | instskip(NEXT) | instid1(VALU_DEP_1)
	v_fma_f32 v14, -v10, v12, v13
	v_fmac_f32_e32 v12, v14, v11
	s_delay_alu instid0(VALU_DEP_1) | instskip(NEXT) | instid1(VALU_DEP_1)
	v_fma_f32 v10, -v10, v12, v13
	v_div_fmas_f32 v10, v10, v11, v12
	s_delay_alu instid0(VALU_DEP_1) | instskip(NEXT) | instid1(VALU_DEP_1)
	v_div_fixup_f32 v4, v10, v9, v4
	v_minmax_num_f32 v10, v4, s5, 0xc3600000
	v_mov_b32_e32 v4, 0x800000
	s_delay_alu instid0(VALU_DEP_2) | instskip(NEXT) | instid1(VALU_DEP_1)
	v_and_b32_e32 v11, 0x7fffffff, v10
	v_cmpx_gt_u32_e32 0x43800000, v11
	s_cbranch_execz .LBB13_170
; %bb.165:                              ;   in Loop: Header=BB13_77 Depth=1
	v_cmp_lt_u32_e32 vcc_lo, 0x3bffffff, v11
	s_mov_b32 s16, 0
                                        ; implicit-def: $vgpr11
	s_and_saveexec_b32 s17, vcc_lo
	s_delay_alu instid0(SALU_CYCLE_1)
	s_xor_b32 s17, exec_lo, s17
	s_cbranch_execnz .LBB13_202
; %bb.166:                              ;   in Loop: Header=BB13_77 Depth=1
	s_and_not1_saveexec_b32 s17, s17
	s_cbranch_execnz .LBB13_203
.LBB13_167:                             ;   in Loop: Header=BB13_77 Depth=1
	s_or_b32 exec_lo, exec_lo, s17
	v_mov_b32_e32 v4, 0
	s_and_saveexec_b32 s17, s16
.LBB13_168:                             ;   in Loop: Header=BB13_77 Depth=1
	v_lshrrev_b32_e32 v4, 24, v10
	s_delay_alu instid0(VALU_DEP_1) | instskip(NEXT) | instid1(VALU_DEP_1)
	v_and_or_b32 v4, 0x80, v4, v11
	v_lshlrev_b32_e32 v4, 16, v4
.LBB13_169:                             ;   in Loop: Header=BB13_77 Depth=1
	s_or_b32 exec_lo, exec_lo, s17
.LBB13_170:                             ;   in Loop: Header=BB13_77 Depth=1
	s_delay_alu instid0(SALU_CYCLE_1) | instskip(SKIP_3) | instid1(VALU_DEP_2)
	s_or_b32 exec_lo, exec_lo, s10
	v_mul_f32_e32 v6, v8, v6
	v_and_b32_e32 v5, 0xffff0000, v5
	s_mov_b32 s10, exec_lo
	v_bfe_u32 v10, v6, 16, 1
	v_cmp_o_f32_e32 vcc_lo, v6, v6
	s_delay_alu instid0(VALU_DEP_2) | instskip(NEXT) | instid1(VALU_DEP_1)
	v_add3_u32 v10, v6, v10, 0x7fff
	v_and_b32_e32 v10, 0xffff0000, v10
	s_delay_alu instid0(VALU_DEP_1) | instskip(NEXT) | instid1(VALU_DEP_1)
	v_cndmask_b32_e32 v6, 0x7fc00000, v10, vcc_lo
	v_mul_f32_e32 v5, v6, v5
	s_delay_alu instid0(VALU_DEP_1) | instskip(SKIP_1) | instid1(VALU_DEP_2)
	v_bfe_u32 v6, v5, 16, 1
	v_cmp_o_f32_e32 vcc_lo, v5, v5
	v_add3_u32 v6, v5, v6, 0x7fff
	s_delay_alu instid0(VALU_DEP_1) | instskip(NEXT) | instid1(VALU_DEP_1)
	v_and_b32_e32 v6, 0xffff0000, v6
	v_cndmask_b32_e32 v5, 0x7fc00000, v6, vcc_lo
	s_delay_alu instid0(VALU_DEP_1) | instskip(SKIP_1) | instid1(VALU_DEP_2)
	v_div_scale_f32 v6, null, v9, v9, v5
	v_div_scale_f32 v12, vcc_lo, v5, v9, v5
	v_rcp_f32_e32 v10, v6
	v_nop
	s_delay_alu instid0(TRANS32_DEP_1) | instskip(NEXT) | instid1(VALU_DEP_1)
	v_fma_f32 v11, -v6, v10, 1.0
	v_fmac_f32_e32 v10, v11, v10
	s_delay_alu instid0(VALU_DEP_1) | instskip(NEXT) | instid1(VALU_DEP_1)
	v_mul_f32_e32 v11, v12, v10
	v_fma_f32 v13, -v6, v11, v12
	s_delay_alu instid0(VALU_DEP_1) | instskip(NEXT) | instid1(VALU_DEP_1)
	v_fmac_f32_e32 v11, v13, v10
	v_fma_f32 v6, -v6, v11, v12
	s_delay_alu instid0(VALU_DEP_1) | instskip(SKIP_1) | instid1(VALU_DEP_2)
	v_div_fmas_f32 v6, v6, v10, v11
	v_bfrev_b32_e32 v10, 1
	v_div_fixup_f32 v5, v6, v9, v5
	s_delay_alu instid0(VALU_DEP_1) | instskip(NEXT) | instid1(VALU_DEP_1)
	v_minmax_num_f32 v5, v5, s5, 0xc3600000
	v_and_b32_e32 v6, 0x7fffffff, v5
	s_delay_alu instid0(VALU_DEP_1)
	v_cmpx_gt_u32_e32 0x43800000, v6
	s_cbranch_execz .LBB13_73
; %bb.171:                              ;   in Loop: Header=BB13_77 Depth=1
	v_cmp_lt_u32_e32 vcc_lo, 0x3bffffff, v6
	s_mov_b32 s16, 0
                                        ; implicit-def: $vgpr6
	s_and_saveexec_b32 s17, vcc_lo
	s_delay_alu instid0(SALU_CYCLE_1)
	s_xor_b32 s17, exec_lo, s17
	s_cbranch_execnz .LBB13_204
; %bb.172:                              ;   in Loop: Header=BB13_77 Depth=1
	s_and_not1_saveexec_b32 s17, s17
	s_cbranch_execnz .LBB13_205
.LBB13_173:                             ;   in Loop: Header=BB13_77 Depth=1
	s_or_b32 exec_lo, exec_lo, s17
	v_mov_b32_e32 v10, 0
	s_and_saveexec_b32 s17, s16
	s_cbranch_execz .LBB13_72
	s_branch .LBB13_206
.LBB13_174:                             ;   in Loop: Header=BB13_77 Depth=1
	v_bfe_u32 v4, v10, 20, 1
	s_mov_b32 s8, exec_lo
	s_delay_alu instid0(VALU_DEP_1) | instskip(NEXT) | instid1(VALU_DEP_1)
	v_add3_u32 v4, v10, v4, 0x487ffff
	v_bfe_u32 v11, v4, 20, 8
	s_and_not1_saveexec_b32 s9, s9
	s_cbranch_execz .LBB13_80
.LBB13_175:                             ;   in Loop: Header=BB13_77 Depth=1
	v_add_f32_e64 v4, 0x46000000, |v10|
	s_and_not1_b32 s8, s8, exec_lo
	s_delay_alu instid0(VALU_DEP_1) | instskip(NEXT) | instid1(VALU_DEP_1)
	v_and_b32_e32 v11, 0xff, v4
	v_cmp_ne_u32_e32 vcc_lo, 0, v11
	s_and_b32 s10, vcc_lo, exec_lo
	s_delay_alu instid0(SALU_CYCLE_1)
	s_or_b32 s8, s8, s10
	s_or_b32 exec_lo, exec_lo, s9
	v_mov_b32_e32 v4, 0
	s_and_saveexec_b32 s9, s8
	s_cbranch_execnz .LBB13_81
	s_branch .LBB13_82
.LBB13_176:                             ;   in Loop: Header=BB13_77 Depth=1
	v_bfe_u32 v6, v10, 20, 1
	s_mov_b32 s8, exec_lo
	s_delay_alu instid0(VALU_DEP_1) | instskip(NEXT) | instid1(VALU_DEP_1)
	v_add3_u32 v6, v10, v6, 0x487ffff
	v_bfe_u32 v11, v6, 20, 8
	s_and_not1_saveexec_b32 s9, s9
	s_cbranch_execz .LBB13_86
.LBB13_177:                             ;   in Loop: Header=BB13_77 Depth=1
	v_add_f32_e64 v6, 0x46000000, |v10|
	s_and_not1_b32 s8, s8, exec_lo
	s_delay_alu instid0(VALU_DEP_1) | instskip(NEXT) | instid1(VALU_DEP_1)
	v_and_b32_e32 v11, 0xff, v6
	v_cmp_ne_u32_e32 vcc_lo, 0, v11
	s_and_b32 s10, vcc_lo, exec_lo
	s_delay_alu instid0(SALU_CYCLE_1)
	s_or_b32 s8, s8, s10
	s_or_b32 exec_lo, exec_lo, s9
	v_mov_b32_e32 v6, 0
	s_and_saveexec_b32 s9, s8
	s_cbranch_execnz .LBB13_87
	s_branch .LBB13_88
.LBB13_178:                             ;   in Loop: Header=BB13_77 Depth=1
	v_bfe_u32 v7, v2, 20, 1
	s_mov_b32 s8, exec_lo
	s_delay_alu instid0(VALU_DEP_1) | instskip(NEXT) | instid1(VALU_DEP_1)
	v_add3_u32 v7, v2, v7, 0x487ffff
	v_bfe_u32 v10, v7, 20, 8
	s_and_not1_saveexec_b32 s9, s9
	s_cbranch_execz .LBB13_92
.LBB13_179:                             ;   in Loop: Header=BB13_77 Depth=1
	v_add_f32_e64 v7, 0x46000000, |v2|
	s_and_not1_b32 s8, s8, exec_lo
	s_delay_alu instid0(VALU_DEP_1) | instskip(NEXT) | instid1(VALU_DEP_1)
	v_and_b32_e32 v10, 0xff, v7
	v_cmp_ne_u32_e32 vcc_lo, 0, v10
	s_and_b32 s10, vcc_lo, exec_lo
	s_delay_alu instid0(SALU_CYCLE_1)
	s_or_b32 s8, s8, s10
	s_or_b32 exec_lo, exec_lo, s9
	v_mov_b32_e32 v7, 0
	s_and_saveexec_b32 s9, s8
	s_cbranch_execnz .LBB13_93
	s_branch .LBB13_94
.LBB13_180:                             ;   in Loop: Header=BB13_77 Depth=1
	v_bfe_u32 v3, v2, 20, 1
	s_mov_b32 s8, exec_lo
	s_delay_alu instid0(VALU_DEP_1) | instskip(NEXT) | instid1(VALU_DEP_1)
	v_add3_u32 v3, v2, v3, 0x487ffff
	v_bfe_u32 v3, v3, 20, 8
	s_and_not1_saveexec_b32 s9, s9
	s_cbranch_execz .LBB13_98
.LBB13_181:                             ;   in Loop: Header=BB13_77 Depth=1
	v_add_f32_e64 v3, 0x46000000, |v2|
	s_and_not1_b32 s8, s8, exec_lo
	s_delay_alu instid0(VALU_DEP_1) | instskip(NEXT) | instid1(VALU_DEP_1)
	v_and_b32_e32 v3, 0xff, v3
	v_cmp_ne_u32_e32 vcc_lo, 0, v3
	s_and_b32 s10, vcc_lo, exec_lo
	s_delay_alu instid0(SALU_CYCLE_1)
	s_or_b32 s8, s8, s10
	s_or_b32 exec_lo, exec_lo, s9
	v_mov_b32_e32 v5, 0
	s_and_saveexec_b32 s9, s8
	s_cbranch_execnz .LBB13_99
	s_branch .LBB13_100
.LBB13_182:                             ;   in Loop: Header=BB13_77 Depth=1
	v_bfe_u32 v6, v11, 20, 1
	s_mov_b32 s9, exec_lo
	s_delay_alu instid0(VALU_DEP_1) | instskip(NEXT) | instid1(VALU_DEP_1)
	v_add3_u32 v6, v11, v6, 0x487ffff
	v_bfe_u32 v12, v6, 20, 8
	s_and_not1_saveexec_b32 s10, s10
	s_cbranch_execz .LBB13_105
.LBB13_183:                             ;   in Loop: Header=BB13_77 Depth=1
	v_add_f32_e64 v6, 0x46000000, |v11|
	s_and_not1_b32 s9, s9, exec_lo
	s_delay_alu instid0(VALU_DEP_1) | instskip(NEXT) | instid1(VALU_DEP_1)
	v_and_b32_e32 v12, 0xff, v6
	v_cmp_ne_u32_e32 vcc_lo, 0, v12
	s_and_b32 s16, vcc_lo, exec_lo
	s_delay_alu instid0(SALU_CYCLE_1)
	s_or_b32 s9, s9, s16
	s_or_b32 exec_lo, exec_lo, s10
	v_mov_b32_e32 v6, 0
	s_and_saveexec_b32 s10, s9
	s_cbranch_execnz .LBB13_106
	s_branch .LBB13_107
.LBB13_184:                             ;   in Loop: Header=BB13_77 Depth=1
	v_bfe_u32 v7, v11, 20, 1
	s_mov_b32 s9, exec_lo
	s_delay_alu instid0(VALU_DEP_1) | instskip(NEXT) | instid1(VALU_DEP_1)
	v_add3_u32 v7, v11, v7, 0x487ffff
	v_bfe_u32 v12, v7, 20, 8
	s_and_not1_saveexec_b32 s10, s10
	s_cbranch_execz .LBB13_111
.LBB13_185:                             ;   in Loop: Header=BB13_77 Depth=1
	v_add_f32_e64 v7, 0x46000000, |v11|
	s_and_not1_b32 s9, s9, exec_lo
	s_delay_alu instid0(VALU_DEP_1) | instskip(NEXT) | instid1(VALU_DEP_1)
	v_and_b32_e32 v12, 0xff, v7
	v_cmp_ne_u32_e32 vcc_lo, 0, v12
	s_and_b32 s16, vcc_lo, exec_lo
	s_delay_alu instid0(SALU_CYCLE_1)
	s_or_b32 s9, s9, s16
	s_or_b32 exec_lo, exec_lo, s10
	v_mov_b32_e32 v7, 0
	s_and_saveexec_b32 s10, s9
	s_cbranch_execnz .LBB13_112
	s_branch .LBB13_113
.LBB13_186:                             ;   in Loop: Header=BB13_77 Depth=1
	v_bfe_u32 v10, v4, 20, 1
	s_mov_b32 s9, exec_lo
	s_delay_alu instid0(VALU_DEP_1) | instskip(NEXT) | instid1(VALU_DEP_1)
	v_add3_u32 v10, v4, v10, 0x487ffff
	v_bfe_u32 v11, v10, 20, 8
	s_and_not1_saveexec_b32 s10, s10
	s_cbranch_execz .LBB13_117
.LBB13_187:                             ;   in Loop: Header=BB13_77 Depth=1
	v_add_f32_e64 v10, 0x46000000, |v4|
	s_and_not1_b32 s9, s9, exec_lo
	s_delay_alu instid0(VALU_DEP_1) | instskip(NEXT) | instid1(VALU_DEP_1)
	v_and_b32_e32 v11, 0xff, v10
	v_cmp_ne_u32_e32 vcc_lo, 0, v11
	s_and_b32 s16, vcc_lo, exec_lo
	s_delay_alu instid0(SALU_CYCLE_1)
	s_or_b32 s9, s9, s16
	s_or_b32 exec_lo, exec_lo, s10
	v_mov_b32_e32 v10, 0
	s_and_saveexec_b32 s10, s9
	s_cbranch_execnz .LBB13_118
	s_branch .LBB13_119
.LBB13_188:                             ;   in Loop: Header=BB13_77 Depth=1
	v_bfe_u32 v4, v3, 20, 1
	s_mov_b32 s9, exec_lo
	s_delay_alu instid0(VALU_DEP_1) | instskip(NEXT) | instid1(VALU_DEP_1)
	v_add3_u32 v4, v3, v4, 0x487ffff
	v_bfe_u32 v4, v4, 20, 8
	s_and_not1_saveexec_b32 s10, s10
	s_cbranch_execz .LBB13_123
.LBB13_189:                             ;   in Loop: Header=BB13_77 Depth=1
	v_add_f32_e64 v4, 0x46000000, |v3|
	s_and_not1_b32 s9, s9, exec_lo
	s_delay_alu instid0(VALU_DEP_1) | instskip(NEXT) | instid1(VALU_DEP_1)
	v_and_b32_e32 v4, 0xff, v4
	v_cmp_ne_u32_e32 vcc_lo, 0, v4
	s_and_b32 s16, vcc_lo, exec_lo
	s_delay_alu instid0(SALU_CYCLE_1)
	s_or_b32 s9, s9, s16
	s_or_b32 exec_lo, exec_lo, s10
	v_mov_b32_e32 v5, 0
	s_and_saveexec_b32 s10, s9
	s_cbranch_execnz .LBB13_124
	s_branch .LBB13_125
.LBB13_190:                             ;   in Loop: Header=BB13_77 Depth=1
	v_bfe_u32 v3, v12, 20, 1
	s_mov_b32 s10, exec_lo
	s_delay_alu instid0(VALU_DEP_1) | instskip(NEXT) | instid1(VALU_DEP_1)
	v_add3_u32 v3, v12, v3, 0x487ffff
	v_bfe_u32 v13, v3, 20, 8
	s_and_not1_saveexec_b32 s16, s16
	s_cbranch_execz .LBB13_130
.LBB13_191:                             ;   in Loop: Header=BB13_77 Depth=1
	v_add_f32_e64 v3, 0x46000000, |v12|
	s_and_not1_b32 s10, s10, exec_lo
	s_delay_alu instid0(VALU_DEP_1) | instskip(NEXT) | instid1(VALU_DEP_1)
	v_and_b32_e32 v13, 0xff, v3
	v_cmp_ne_u32_e32 vcc_lo, 0, v13
	s_and_b32 s17, vcc_lo, exec_lo
	s_delay_alu instid0(SALU_CYCLE_1)
	s_or_b32 s10, s10, s17
	s_or_b32 exec_lo, exec_lo, s16
	v_mov_b32_e32 v3, 0
	s_and_saveexec_b32 s16, s10
	s_cbranch_execnz .LBB13_131
	s_branch .LBB13_132
.LBB13_192:                             ;   in Loop: Header=BB13_77 Depth=1
	v_bfe_u32 v10, v12, 20, 1
	s_mov_b32 s10, exec_lo
	s_delay_alu instid0(VALU_DEP_1) | instskip(NEXT) | instid1(VALU_DEP_1)
	v_add3_u32 v10, v12, v10, 0x487ffff
	v_bfe_u32 v13, v10, 20, 8
	s_and_not1_saveexec_b32 s16, s16
	s_cbranch_execz .LBB13_136
.LBB13_193:                             ;   in Loop: Header=BB13_77 Depth=1
	v_add_f32_e64 v10, 0x46000000, |v12|
	s_and_not1_b32 s10, s10, exec_lo
	s_delay_alu instid0(VALU_DEP_1) | instskip(NEXT) | instid1(VALU_DEP_1)
	v_and_b32_e32 v13, 0xff, v10
	v_cmp_ne_u32_e32 vcc_lo, 0, v13
	s_and_b32 s17, vcc_lo, exec_lo
	s_delay_alu instid0(SALU_CYCLE_1)
	s_or_b32 s10, s10, s17
	s_or_b32 exec_lo, exec_lo, s16
	v_mov_b32_e32 v10, 0
	s_and_saveexec_b32 s16, s10
	s_cbranch_execnz .LBB13_137
	s_branch .LBB13_138
.LBB13_194:                             ;   in Loop: Header=BB13_77 Depth=1
	v_bfe_u32 v6, v11, 20, 1
	s_mov_b32 s10, exec_lo
	s_delay_alu instid0(VALU_DEP_1) | instskip(NEXT) | instid1(VALU_DEP_1)
	v_add3_u32 v6, v11, v6, 0x487ffff
	v_bfe_u32 v12, v6, 20, 8
	s_and_not1_saveexec_b32 s16, s16
	s_cbranch_execz .LBB13_142
.LBB13_195:                             ;   in Loop: Header=BB13_77 Depth=1
	v_add_f32_e64 v6, 0x46000000, |v11|
	s_and_not1_b32 s10, s10, exec_lo
	s_delay_alu instid0(VALU_DEP_1) | instskip(NEXT) | instid1(VALU_DEP_1)
	v_and_b32_e32 v12, 0xff, v6
	v_cmp_ne_u32_e32 vcc_lo, 0, v12
	s_and_b32 s17, vcc_lo, exec_lo
	s_delay_alu instid0(SALU_CYCLE_1)
	s_or_b32 s10, s10, s17
	s_or_b32 exec_lo, exec_lo, s16
	v_mov_b32_e32 v6, 0
	s_and_saveexec_b32 s16, s10
	s_cbranch_execnz .LBB13_143
	s_branch .LBB13_144
.LBB13_196:                             ;   in Loop: Header=BB13_77 Depth=1
	v_bfe_u32 v7, v5, 20, 1
	s_mov_b32 s10, exec_lo
	s_delay_alu instid0(VALU_DEP_1) | instskip(NEXT) | instid1(VALU_DEP_1)
	v_add3_u32 v7, v5, v7, 0x487ffff
	v_bfe_u32 v7, v7, 20, 8
	s_and_not1_saveexec_b32 s16, s16
	s_cbranch_execz .LBB13_148
.LBB13_197:                             ;   in Loop: Header=BB13_77 Depth=1
	v_add_f32_e64 v7, 0x46000000, |v5|
	s_and_not1_b32 s10, s10, exec_lo
	s_delay_alu instid0(VALU_DEP_1) | instskip(NEXT) | instid1(VALU_DEP_1)
	v_and_b32_e32 v7, 0xff, v7
	v_cmp_ne_u32_e32 vcc_lo, 0, v7
	s_and_b32 s17, vcc_lo, exec_lo
	s_delay_alu instid0(SALU_CYCLE_1)
	s_or_b32 s10, s10, s17
	s_or_b32 exec_lo, exec_lo, s16
	v_mov_b32_e32 v11, 0
	s_and_saveexec_b32 s16, s10
	s_cbranch_execnz .LBB13_149
	s_branch .LBB13_150
.LBB13_198:                             ;   in Loop: Header=BB13_77 Depth=1
	v_bfe_u32 v3, v11, 20, 1
	s_mov_b32 s16, exec_lo
	s_delay_alu instid0(VALU_DEP_1) | instskip(NEXT) | instid1(VALU_DEP_1)
	v_add3_u32 v3, v11, v3, 0x487ffff
	v_bfe_u32 v12, v3, 20, 8
	s_and_not1_saveexec_b32 s17, s17
	s_cbranch_execz .LBB13_155
.LBB13_199:                             ;   in Loop: Header=BB13_77 Depth=1
	v_add_f32_e64 v3, 0x46000000, |v11|
	s_and_not1_b32 s16, s16, exec_lo
	s_delay_alu instid0(VALU_DEP_1) | instskip(NEXT) | instid1(VALU_DEP_1)
	v_and_b32_e32 v12, 0xff, v3
	v_cmp_ne_u32_e32 vcc_lo, 0, v12
	s_and_b32 s18, vcc_lo, exec_lo
	s_delay_alu instid0(SALU_CYCLE_1)
	s_or_b32 s16, s16, s18
	s_or_b32 exec_lo, exec_lo, s17
	v_mov_b32_e32 v3, 0
	s_and_saveexec_b32 s17, s16
	s_cbranch_execnz .LBB13_156
	s_branch .LBB13_157
.LBB13_200:                             ;   in Loop: Header=BB13_77 Depth=1
	v_bfe_u32 v7, v11, 20, 1
	s_mov_b32 s16, exec_lo
	s_delay_alu instid0(VALU_DEP_1) | instskip(NEXT) | instid1(VALU_DEP_1)
	v_add3_u32 v7, v11, v7, 0x487ffff
	v_bfe_u32 v12, v7, 20, 8
	s_and_not1_saveexec_b32 s17, s17
	s_cbranch_execz .LBB13_161
.LBB13_201:                             ;   in Loop: Header=BB13_77 Depth=1
	v_add_f32_e64 v7, 0x46000000, |v11|
	s_and_not1_b32 s16, s16, exec_lo
	s_delay_alu instid0(VALU_DEP_1) | instskip(NEXT) | instid1(VALU_DEP_1)
	v_and_b32_e32 v12, 0xff, v7
	v_cmp_ne_u32_e32 vcc_lo, 0, v12
	s_and_b32 s18, vcc_lo, exec_lo
	s_delay_alu instid0(SALU_CYCLE_1)
	s_or_b32 s16, s16, s18
	s_or_b32 exec_lo, exec_lo, s17
	v_mov_b32_e32 v7, 0
	s_and_saveexec_b32 s17, s16
	s_cbranch_execnz .LBB13_162
	s_branch .LBB13_163
.LBB13_202:                             ;   in Loop: Header=BB13_77 Depth=1
	v_bfe_u32 v4, v10, 20, 1
	s_mov_b32 s16, exec_lo
	s_delay_alu instid0(VALU_DEP_1) | instskip(NEXT) | instid1(VALU_DEP_1)
	v_add3_u32 v4, v10, v4, 0x487ffff
	v_bfe_u32 v11, v4, 20, 8
	s_and_not1_saveexec_b32 s17, s17
	s_cbranch_execz .LBB13_167
.LBB13_203:                             ;   in Loop: Header=BB13_77 Depth=1
	v_add_f32_e64 v4, 0x46000000, |v10|
	s_and_not1_b32 s16, s16, exec_lo
	s_delay_alu instid0(VALU_DEP_1) | instskip(NEXT) | instid1(VALU_DEP_1)
	v_and_b32_e32 v11, 0xff, v4
	v_cmp_ne_u32_e32 vcc_lo, 0, v11
	s_and_b32 s18, vcc_lo, exec_lo
	s_delay_alu instid0(SALU_CYCLE_1)
	s_or_b32 s16, s16, s18
	s_or_b32 exec_lo, exec_lo, s17
	v_mov_b32_e32 v4, 0
	s_and_saveexec_b32 s17, s16
	s_cbranch_execnz .LBB13_168
	s_branch .LBB13_169
.LBB13_204:                             ;   in Loop: Header=BB13_77 Depth=1
	v_bfe_u32 v6, v5, 20, 1
	s_mov_b32 s16, exec_lo
	s_delay_alu instid0(VALU_DEP_1) | instskip(NEXT) | instid1(VALU_DEP_1)
	v_add3_u32 v6, v5, v6, 0x487ffff
	v_bfe_u32 v6, v6, 20, 8
	s_and_not1_saveexec_b32 s17, s17
	s_cbranch_execz .LBB13_173
.LBB13_205:                             ;   in Loop: Header=BB13_77 Depth=1
	v_add_f32_e64 v6, 0x46000000, |v5|
	s_and_not1_b32 s16, s16, exec_lo
	s_delay_alu instid0(VALU_DEP_1) | instskip(NEXT) | instid1(VALU_DEP_1)
	v_and_b32_e32 v6, 0xff, v6
	v_cmp_ne_u32_e32 vcc_lo, 0, v6
	s_and_b32 s18, vcc_lo, exec_lo
	s_delay_alu instid0(SALU_CYCLE_1)
	s_or_b32 s16, s16, s18
	s_or_b32 exec_lo, exec_lo, s17
	v_mov_b32_e32 v10, 0
	s_and_saveexec_b32 s17, s16
	s_cbranch_execz .LBB13_72
.LBB13_206:                             ;   in Loop: Header=BB13_77 Depth=1
	v_and_b32_e32 v5, 0x80000000, v5
	s_delay_alu instid0(VALU_DEP_1)
	v_lshl_or_b32 v10, v6, 24, v5
	s_branch .LBB13_72
.LBB13_207:
	s_endpgm
	.section	.rodata,"a",@progbits
	.p2align	6, 0x0
	.amdhsa_kernel _ZN4vllm39rms_norm_dynamic_per_token_quant_kernelIN3c108BFloat16ENS1_15Float8_e4m3fnuzELb1EEEvPT0_PfPKT_S9_PKffiPS7_
		.amdhsa_group_segment_fixed_size 272
		.amdhsa_private_segment_fixed_size 0
		.amdhsa_kernarg_size 312
		.amdhsa_user_sgpr_count 2
		.amdhsa_user_sgpr_dispatch_ptr 0
		.amdhsa_user_sgpr_queue_ptr 0
		.amdhsa_user_sgpr_kernarg_segment_ptr 1
		.amdhsa_user_sgpr_dispatch_id 0
		.amdhsa_user_sgpr_kernarg_preload_length 0
		.amdhsa_user_sgpr_kernarg_preload_offset 0
		.amdhsa_user_sgpr_private_segment_size 0
		.amdhsa_wavefront_size32 1
		.amdhsa_uses_dynamic_stack 0
		.amdhsa_enable_private_segment 0
		.amdhsa_system_sgpr_workgroup_id_x 1
		.amdhsa_system_sgpr_workgroup_id_y 0
		.amdhsa_system_sgpr_workgroup_id_z 0
		.amdhsa_system_sgpr_workgroup_info 0
		.amdhsa_system_vgpr_workitem_id 0
		.amdhsa_next_free_vgpr 24
		.amdhsa_next_free_sgpr 40
		.amdhsa_named_barrier_count 0
		.amdhsa_reserve_vcc 1
		.amdhsa_float_round_mode_32 0
		.amdhsa_float_round_mode_16_64 0
		.amdhsa_float_denorm_mode_32 3
		.amdhsa_float_denorm_mode_16_64 3
		.amdhsa_fp16_overflow 0
		.amdhsa_memory_ordered 1
		.amdhsa_forward_progress 1
		.amdhsa_inst_pref_size 138
		.amdhsa_round_robin_scheduling 0
		.amdhsa_exception_fp_ieee_invalid_op 0
		.amdhsa_exception_fp_denorm_src 0
		.amdhsa_exception_fp_ieee_div_zero 0
		.amdhsa_exception_fp_ieee_overflow 0
		.amdhsa_exception_fp_ieee_underflow 0
		.amdhsa_exception_fp_ieee_inexact 0
		.amdhsa_exception_int_div_zero 0
	.end_amdhsa_kernel
	.section	.text._ZN4vllm39rms_norm_dynamic_per_token_quant_kernelIN3c108BFloat16ENS1_15Float8_e4m3fnuzELb1EEEvPT0_PfPKT_S9_PKffiPS7_,"axG",@progbits,_ZN4vllm39rms_norm_dynamic_per_token_quant_kernelIN3c108BFloat16ENS1_15Float8_e4m3fnuzELb1EEEvPT0_PfPKT_S9_PKffiPS7_,comdat
.Lfunc_end13:
	.size	_ZN4vllm39rms_norm_dynamic_per_token_quant_kernelIN3c108BFloat16ENS1_15Float8_e4m3fnuzELb1EEEvPT0_PfPKT_S9_PKffiPS7_, .Lfunc_end13-_ZN4vllm39rms_norm_dynamic_per_token_quant_kernelIN3c108BFloat16ENS1_15Float8_e4m3fnuzELb1EEEvPT0_PfPKT_S9_PKffiPS7_
                                        ; -- End function
	.set _ZN4vllm39rms_norm_dynamic_per_token_quant_kernelIN3c108BFloat16ENS1_15Float8_e4m3fnuzELb1EEEvPT0_PfPKT_S9_PKffiPS7_.num_vgpr, 24
	.set _ZN4vllm39rms_norm_dynamic_per_token_quant_kernelIN3c108BFloat16ENS1_15Float8_e4m3fnuzELb1EEEvPT0_PfPKT_S9_PKffiPS7_.num_agpr, 0
	.set _ZN4vllm39rms_norm_dynamic_per_token_quant_kernelIN3c108BFloat16ENS1_15Float8_e4m3fnuzELb1EEEvPT0_PfPKT_S9_PKffiPS7_.numbered_sgpr, 40
	.set _ZN4vllm39rms_norm_dynamic_per_token_quant_kernelIN3c108BFloat16ENS1_15Float8_e4m3fnuzELb1EEEvPT0_PfPKT_S9_PKffiPS7_.num_named_barrier, 0
	.set _ZN4vllm39rms_norm_dynamic_per_token_quant_kernelIN3c108BFloat16ENS1_15Float8_e4m3fnuzELb1EEEvPT0_PfPKT_S9_PKffiPS7_.private_seg_size, 0
	.set _ZN4vllm39rms_norm_dynamic_per_token_quant_kernelIN3c108BFloat16ENS1_15Float8_e4m3fnuzELb1EEEvPT0_PfPKT_S9_PKffiPS7_.uses_vcc, 1
	.set _ZN4vllm39rms_norm_dynamic_per_token_quant_kernelIN3c108BFloat16ENS1_15Float8_e4m3fnuzELb1EEEvPT0_PfPKT_S9_PKffiPS7_.uses_flat_scratch, 0
	.set _ZN4vllm39rms_norm_dynamic_per_token_quant_kernelIN3c108BFloat16ENS1_15Float8_e4m3fnuzELb1EEEvPT0_PfPKT_S9_PKffiPS7_.has_dyn_sized_stack, 0
	.set _ZN4vllm39rms_norm_dynamic_per_token_quant_kernelIN3c108BFloat16ENS1_15Float8_e4m3fnuzELb1EEEvPT0_PfPKT_S9_PKffiPS7_.has_recursion, 0
	.set _ZN4vllm39rms_norm_dynamic_per_token_quant_kernelIN3c108BFloat16ENS1_15Float8_e4m3fnuzELb1EEEvPT0_PfPKT_S9_PKffiPS7_.has_indirect_call, 0
	.section	.AMDGPU.csdata,"",@progbits
; Kernel info:
; codeLenInByte = 17616
; TotalNumSgprs: 42
; NumVgprs: 24
; ScratchSize: 0
; MemoryBound: 0
; FloatMode: 240
; IeeeMode: 1
; LDSByteSize: 272 bytes/workgroup (compile time only)
; SGPRBlocks: 0
; VGPRBlocks: 1
; NumSGPRsForWavesPerEU: 42
; NumVGPRsForWavesPerEU: 24
; NamedBarCnt: 0
; Occupancy: 16
; WaveLimiterHint : 0
; COMPUTE_PGM_RSRC2:SCRATCH_EN: 0
; COMPUTE_PGM_RSRC2:USER_SGPR: 2
; COMPUTE_PGM_RSRC2:TRAP_HANDLER: 0
; COMPUTE_PGM_RSRC2:TGID_X_EN: 1
; COMPUTE_PGM_RSRC2:TGID_Y_EN: 0
; COMPUTE_PGM_RSRC2:TGID_Z_EN: 0
; COMPUTE_PGM_RSRC2:TIDIG_COMP_CNT: 0
	.section	.text._ZN4vllm39rms_norm_dynamic_per_token_quant_kernelIN3c108BFloat16EaLb1EEEvPT0_PfPKT_S8_PKffiPS6_,"axG",@progbits,_ZN4vllm39rms_norm_dynamic_per_token_quant_kernelIN3c108BFloat16EaLb1EEEvPT0_PfPKT_S8_PKffiPS6_,comdat
	.protected	_ZN4vllm39rms_norm_dynamic_per_token_quant_kernelIN3c108BFloat16EaLb1EEEvPT0_PfPKT_S8_PKffiPS6_ ; -- Begin function _ZN4vllm39rms_norm_dynamic_per_token_quant_kernelIN3c108BFloat16EaLb1EEEvPT0_PfPKT_S8_PKffiPS6_
	.globl	_ZN4vllm39rms_norm_dynamic_per_token_quant_kernelIN3c108BFloat16EaLb1EEEvPT0_PfPKT_S8_PKffiPS6_
	.p2align	8
	.type	_ZN4vllm39rms_norm_dynamic_per_token_quant_kernelIN3c108BFloat16EaLb1EEEvPT0_PfPKT_S8_PKffiPS6_,@function
_ZN4vllm39rms_norm_dynamic_per_token_quant_kernelIN3c108BFloat16EaLb1EEEvPT0_PfPKT_S8_PKffiPS6_: ; @_ZN4vllm39rms_norm_dynamic_per_token_quant_kernelIN3c108BFloat16EaLb1EEEvPT0_PfPKT_S8_PKffiPS6_
; %bb.0:
	s_clause 0x2
	s_load_b128 s[24:27], s[0:1], 0x20
	s_load_b256 s[16:23], s[0:1], 0x0
	s_load_b64 s[14:15], s[0:1], 0x30
	s_mov_b32 s31, 0
	s_getreg_b32 s33, hwreg(HW_REG_IB_STS2, 6, 4)
	s_add_nc_u64 s[34:35], s[0:1], 56
	s_wait_kmcnt 0x0
	s_and_b32 s2, s27, 3
	s_delay_alu instid0(SALU_CYCLE_1)
	s_cmp_lg_u32 s2, 0
	s_cbranch_scc0 .LBB14_27
; %bb.1:
	s_load_b32 s12, s[0:1], 0x38
	s_bfe_u32 s2, ttmp6, 0x4000c
	s_and_b32 s3, ttmp6, 15
	s_add_co_i32 s2, s2, 1
	v_mov_b32_e32 v4, 0
	s_mul_i32 s2, ttmp9, s2
	s_mov_b32 s4, s27
	s_add_co_i32 s3, s3, s2
	s_cmp_eq_u32 s33, 0
	v_cmp_gt_u32_e64 s2, s27, v0
	s_cselect_b32 s30, ttmp9, s3
	s_ashr_i32 s5, s27, 31
	s_delay_alu instid0(SALU_CYCLE_1)
	s_mul_u64 s[28:29], s[4:5], s[30:31]
	s_and_saveexec_b32 s3, s2
	s_cbranch_execz .LBB14_5
; %bb.2:
	s_wait_kmcnt 0x0
	s_cmp_lt_u32 s30, s12
	s_mov_b32 s5, 0
	s_cselect_b32 s4, 12, 18
	v_dual_mov_b32 v3, 0 :: v_dual_mov_b32 v4, 0
	s_add_nc_u64 s[6:7], s[34:35], s[4:5]
	v_mov_b32_e32 v2, v0
	s_load_u16 s4, s[6:7], 0x0
.LBB14_3:                               ; =>This Inner Loop Header: Depth=1
	s_delay_alu instid0(VALU_DEP_1) | instskip(SKIP_2) | instid1(VALU_DEP_1)
	v_add_nc_u64_e32 v[6:7], s[28:29], v[2:3]
	s_wait_kmcnt 0x0
	v_add_nc_u32_e32 v2, s4, v2
	v_cmp_le_u32_e32 vcc_lo, s27, v2
	s_delay_alu instid0(VALU_DEP_3) | instskip(SKIP_1) | instid1(VALU_DEP_1)
	v_lshlrev_b64_e32 v[6:7], 1, v[6:7]
	s_or_b32 s5, vcc_lo, s5
	v_add_nc_u64_e32 v[8:9], s[20:21], v[6:7]
	v_add_nc_u64_e32 v[6:7], s[14:15], v[6:7]
	global_load_u16 v1, v[8:9], off
	global_load_u16 v5, v[6:7], off
	s_wait_loadcnt 0x1
	v_lshlrev_b32_e32 v1, 16, v1
	s_wait_loadcnt 0x0
	v_lshlrev_b32_e32 v5, 16, v5
	s_delay_alu instid0(VALU_DEP_1) | instskip(NEXT) | instid1(VALU_DEP_1)
	v_add_f32_e32 v1, v5, v1
	v_fmac_f32_e32 v4, v1, v1
	s_and_not1_b32 exec_lo, exec_lo, s5
	s_cbranch_execnz .LBB14_3
; %bb.4:
	s_or_b32 exec_lo, exec_lo, s5
.LBB14_5:
	s_delay_alu instid0(SALU_CYCLE_1) | instskip(SKIP_3) | instid1(VALU_DEP_2)
	s_or_b32 exec_lo, exec_lo, s3
	v_mbcnt_lo_u32_b32 v1, -1, 0
	s_load_b32 s3, s[34:35], 0xc
	v_and_b32_e32 v3, 0x3c0, v0
	v_cmp_ne_u32_e32 vcc_lo, 63, v1
	v_cmp_eq_u32_e64 s8, 0, v1
	v_dual_add_nc_u32 v5, 1, v1 :: v_dual_lshlrev_b32 v8, 2, v1
	v_add_co_ci_u32_e64 v2, null, 0, v1, vcc_lo
	v_cmp_gt_u32_e32 vcc_lo, 62, v1
	s_delay_alu instid0(VALU_DEP_2)
	v_lshlrev_b32_e32 v7, 2, v2
	v_cndmask_b32_e64 v6, 0, 2, vcc_lo
	v_cmp_gt_u32_e32 vcc_lo, 60, v1
	ds_bpermute_b32 v2, v7, v4
	s_wait_kmcnt 0x0
	s_and_b32 s36, s3, 0xffff
	v_add_lshl_u32 v9, v6, v1, 2
	v_sub_nc_u32_e64 v3, s36, v3 clamp
	v_add_nc_u32_e32 v6, 2, v1
	s_delay_alu instid0(VALU_DEP_2) | instskip(NEXT) | instid1(VALU_DEP_2)
	v_cmp_lt_u32_e64 s3, v5, v3
	v_cmp_lt_u32_e64 s4, v6, v3
	v_add_nc_u32_e32 v6, 4, v1
	v_cndmask_b32_e64 v5, 0, 4, vcc_lo
	v_cmp_gt_u32_e32 vcc_lo, 56, v1
	s_delay_alu instid0(VALU_DEP_3) | instskip(NEXT) | instid1(VALU_DEP_3)
	v_cmp_lt_u32_e64 s5, v6, v3
	v_add_lshl_u32 v10, v5, v1, 2
	v_cndmask_b32_e64 v5, 0, 8, vcc_lo
	v_cmp_gt_u32_e32 vcc_lo, 48, v1
	s_wait_dscnt 0x0
	v_dual_add_nc_u32 v6, 8, v1 :: v_dual_add_f32 v2, v4, v2
	s_delay_alu instid0(VALU_DEP_3) | instskip(SKIP_1) | instid1(VALU_DEP_3)
	v_add_lshl_u32 v11, v5, v1, 2
	v_cndmask_b32_e64 v5, 0, 16, vcc_lo
	v_cmp_lt_u32_e64 s6, v6, v3
	s_delay_alu instid0(VALU_DEP_4) | instskip(NEXT) | instid1(VALU_DEP_3)
	v_cndmask_b32_e64 v2, v4, v2, s3
	v_add_lshl_u32 v12, v5, v1, 2
	v_add_nc_u32_e32 v5, 16, v1
	ds_bpermute_b32 v4, v9, v2
	v_cmp_lt_u32_e64 s7, v5, v3
	v_or_b32_e32 v5, 32, v1
	s_delay_alu instid0(VALU_DEP_1) | instskip(SKIP_2) | instid1(VALU_DEP_1)
	v_cmp_lt_u32_e64 s10, v5, v3
	s_wait_dscnt 0x0
	v_add_f32_e32 v4, v2, v4
	v_cndmask_b32_e64 v2, v2, v4, s4
	ds_bpermute_b32 v4, v10, v2
	s_wait_dscnt 0x0
	v_add_f32_e32 v4, v2, v4
	s_delay_alu instid0(VALU_DEP_1) | instskip(SKIP_3) | instid1(VALU_DEP_1)
	v_cndmask_b32_e64 v2, v2, v4, s5
	ds_bpermute_b32 v4, v11, v2
	s_wait_dscnt 0x0
	v_add_f32_e32 v4, v2, v4
	v_cndmask_b32_e64 v2, v2, v4, s6
	ds_bpermute_b32 v4, v12, v2
	s_wait_dscnt 0x0
	v_add_f32_e32 v4, v2, v4
	s_delay_alu instid0(VALU_DEP_1) | instskip(SKIP_3) | instid1(VALU_DEP_1)
	v_cndmask_b32_e64 v2, v2, v4, s7
	ds_bpermute_b32 v4, v8, v2 offset:128
	s_wait_dscnt 0x0
	v_add_f32_e32 v4, v2, v4
	v_cndmask_b32_e64 v2, v2, v4, s10
	s_and_saveexec_b32 s9, s8
; %bb.6:
	v_lshrrev_b32_e32 v3, 4, v0
	s_delay_alu instid0(VALU_DEP_1)
	v_and_b32_e32 v3, 60, v3
	ds_store_b32 v3, v2 offset:128
; %bb.7:
	s_or_b32 exec_lo, exec_lo, s9
	v_cmp_gt_u32_e64 s9, 16, v0
	v_and_b32_e32 v5, 15, v1
	v_or_b32_e32 v6, 32, v8
	s_wait_dscnt 0x0
	s_barrier_signal -1
	s_barrier_wait -1
	s_and_saveexec_b32 s13, s9
	s_cbranch_execz .LBB14_9
; %bb.8:
	ds_load_b32 v2, v8 offset:128
	v_cmp_ne_u32_e32 vcc_lo, 15, v5
	s_add_co_i32 s11, s36, 63
	v_add_nc_u32_e32 v13, 1, v5
	s_lshr_b32 s37, s11, 6
	v_cmp_gt_u32_e64 s11, 12, v5
	v_add_co_ci_u32_e64 v3, null, 0, v1, vcc_lo
	v_cmp_gt_u32_e32 vcc_lo, 14, v5
	s_delay_alu instid0(VALU_DEP_3) | instskip(NEXT) | instid1(VALU_DEP_3)
	v_cndmask_b32_e64 v14, 0, 4, s11
	v_lshlrev_b32_e32 v3, 2, v3
	v_cndmask_b32_e64 v4, 0, 2, vcc_lo
	v_cmp_gt_u32_e32 vcc_lo, s37, v13
	v_add_nc_u32_e32 v13, 2, v5
	s_delay_alu instid0(VALU_DEP_3)
	v_add_lshl_u32 v4, v4, v1, 2
	s_wait_dscnt 0x0
	ds_bpermute_b32 v3, v3, v2
	v_cmp_gt_u32_e64 s11, s37, v13
	s_wait_dscnt 0x0
	v_dual_add_nc_u32 v13, 4, v5 :: v_dual_add_f32 v3, v2, v3
	s_delay_alu instid0(VALU_DEP_1) | instskip(SKIP_3) | instid1(VALU_DEP_1)
	v_cndmask_b32_e32 v3, v2, v3, vcc_lo
	ds_bpermute_b32 v4, v4, v3
	s_wait_dscnt 0x0
	v_add_f32_e32 v4, v3, v4
	v_cndmask_b32_e64 v3, v3, v4, s11
	v_add_lshl_u32 v4, v14, v1, 2
	v_cmp_gt_u32_e64 s11, s37, v13
	v_add_nc_u32_e32 v13, 8, v5
	ds_bpermute_b32 v4, v4, v3
	s_wait_dscnt 0x0
	v_add_f32_e32 v4, v3, v4
	s_delay_alu instid0(VALU_DEP_1) | instskip(SKIP_4) | instid1(VALU_DEP_1)
	v_cndmask_b32_e64 v3, v3, v4, s11
	v_cmp_gt_u32_e64 s11, s37, v13
	ds_bpermute_b32 v4, v6, v3
	s_wait_dscnt 0x0
	v_add_f32_e32 v4, v3, v4
	v_cndmask_b32_e64 v3, v3, v4, s11
	s_delay_alu instid0(VALU_DEP_1)
	v_cndmask_b32_e32 v2, v2, v3, vcc_lo
.LBB14_9:
	s_or_b32 exec_lo, exec_lo, s13
	v_cmp_eq_u32_e64 s11, 0, v0
	s_and_saveexec_b32 s13, s11
	s_cbranch_execz .LBB14_11
; %bb.10:
	s_cvt_f32_i32 s37, s27
	s_delay_alu instid0(SALU_CYCLE_3) | instskip(SKIP_1) | instid1(VALU_DEP_2)
	v_div_scale_f32 v3, null, s37, s37, v2
	v_div_scale_f32 v14, vcc_lo, v2, s37, v2
	v_rcp_f32_e32 v4, v3
	v_nop
	s_delay_alu instid0(TRANS32_DEP_1) | instskip(NEXT) | instid1(VALU_DEP_1)
	v_fma_f32 v13, -v3, v4, 1.0
	v_fmac_f32_e32 v4, v13, v4
	s_delay_alu instid0(VALU_DEP_1) | instskip(NEXT) | instid1(VALU_DEP_1)
	v_mul_f32_e32 v13, v14, v4
	v_fma_f32 v15, -v3, v13, v14
	s_delay_alu instid0(VALU_DEP_1) | instskip(NEXT) | instid1(VALU_DEP_1)
	v_fmac_f32_e32 v13, v15, v4
	v_fma_f32 v3, -v3, v13, v14
	s_delay_alu instid0(VALU_DEP_1) | instskip(NEXT) | instid1(VALU_DEP_1)
	v_div_fmas_f32 v3, v3, v4, v13
	v_div_fixup_f32 v2, v3, s37, v2
	s_delay_alu instid0(VALU_DEP_1) | instskip(NEXT) | instid1(VALU_DEP_1)
	v_add_f32_e32 v2, s26, v2
	v_mul_f32_e32 v3, 0x4b800000, v2
	v_cmp_gt_f32_e32 vcc_lo, 0x800000, v2
	s_delay_alu instid0(VALU_DEP_2) | instskip(NEXT) | instid1(VALU_DEP_1)
	v_cndmask_b32_e32 v2, v2, v3, vcc_lo
	v_rsq_f32_e32 v2, v2
	v_nop
	s_delay_alu instid0(TRANS32_DEP_1) | instskip(NEXT) | instid1(VALU_DEP_1)
	v_mul_f32_e32 v3, 0x45800000, v2
	v_dual_cndmask_b32 v2, v2, v3 :: v_dual_mov_b32 v3, 0
	ds_store_b32 v3, v2 offset:264
.LBB14_11:
	s_or_b32 exec_lo, exec_lo, s13
	v_mov_b32_e32 v13, 0
	s_wait_dscnt 0x0
	s_barrier_signal -1
	s_barrier_wait -1
	ds_load_b32 v4, v13 offset:264
	s_and_saveexec_b32 s37, s2
	s_cbranch_execz .LBB14_15
; %bb.12:
	s_cmp_lt_u32 s30, s12
	s_mov_b32 s13, 0
	s_cselect_b32 s12, 12, 18
	v_dual_mov_b32 v3, 0 :: v_dual_mov_b32 v13, 0
	s_add_nc_u64 s[38:39], s[34:35], s[12:13]
	v_mov_b32_e32 v2, v0
	s_load_u16 s38, s[38:39], 0x0
.LBB14_13:                              ; =>This Inner Loop Header: Depth=1
	s_delay_alu instid0(VALU_DEP_1) | instskip(NEXT) | instid1(VALU_DEP_1)
	v_add_nc_u64_e32 v[14:15], s[28:29], v[2:3]
	v_lshlrev_b64_e32 v[14:15], 1, v[14:15]
	s_delay_alu instid0(VALU_DEP_1)
	v_add_nc_u64_e32 v[16:17], s[20:21], v[14:15]
	v_add_nc_u64_e32 v[14:15], s[14:15], v[14:15]
	global_load_u16 v18, v[16:17], off
	global_load_u16 v19, v[14:15], off
	global_load_u16 v20, v2, s[22:23] scale_offset
	s_wait_kmcnt 0x0
	v_add_nc_u32_e32 v2, s38, v2
	s_wait_loadcnt 0x1
	v_dual_lshlrev_b32 v14, 16, v18 :: v_dual_lshlrev_b32 v15, 16, v19
	s_wait_loadcnt 0x0
	s_delay_alu instid0(VALU_DEP_1) | instskip(SKIP_1) | instid1(VALU_DEP_1)
	v_dual_lshlrev_b32 v16, 16, v20 :: v_dual_add_f32 v14, v15, v14
	s_wait_dscnt 0x0
	v_mul_f32_e32 v14, v4, v14
	s_delay_alu instid0(VALU_DEP_1) | instskip(SKIP_1) | instid1(VALU_DEP_2)
	v_bfe_u32 v15, v14, 16, 1
	v_cmp_o_f32_e32 vcc_lo, v14, v14
	v_add3_u32 v15, v14, v15, 0x7fff
	s_delay_alu instid0(VALU_DEP_1) | instskip(NEXT) | instid1(VALU_DEP_1)
	v_and_b32_e32 v15, 0xffff0000, v15
	v_cndmask_b32_e32 v14, 0x7fc00000, v15, vcc_lo
	v_cmp_le_u32_e32 vcc_lo, s27, v2
	s_delay_alu instid0(VALU_DEP_2) | instskip(SKIP_1) | instid1(VALU_DEP_1)
	v_dual_mul_f32 v14, v14, v16 :: v_dual_max_num_f32 v16, v13, v13
	s_or_b32 s13, vcc_lo, s13
	v_bfe_u32 v15, v14, 16, 1
	v_cmp_u_f32_e64 s12, v14, v14
	s_delay_alu instid0(VALU_DEP_2) | instskip(NEXT) | instid1(VALU_DEP_1)
	v_add3_u32 v15, v14, v15, 0x7fff
	v_and_b32_e32 v15, 0xffff0000, v15
	s_delay_alu instid0(VALU_DEP_1) | instskip(NEXT) | instid1(VALU_DEP_1)
	v_max_num_f32_e64 v15, |v15|, |v15|
	v_max_num_f32_e32 v15, v16, v15
	s_delay_alu instid0(VALU_DEP_1)
	v_cndmask_b32_e64 v13, v15, v13, s12
	s_and_not1_b32 exec_lo, exec_lo, s13
	s_cbranch_execnz .LBB14_13
; %bb.14:
	s_or_b32 exec_lo, exec_lo, s13
.LBB14_15:
	s_delay_alu instid0(SALU_CYCLE_1)
	s_or_b32 exec_lo, exec_lo, s37
	ds_bpermute_b32 v3, v7, v13
	v_or_b32_e32 v2, 0x80, v8
	s_wait_dscnt 0x0
	v_cmp_lt_f32_e32 vcc_lo, v13, v3
	v_cndmask_b32_e32 v3, v13, v3, vcc_lo
	s_delay_alu instid0(VALU_DEP_1) | instskip(SKIP_1) | instid1(SALU_CYCLE_1)
	v_cndmask_b32_e64 v3, v13, v3, s3
	s_or_b32 s3, s3, s4
	s_or_b32 s3, s5, s3
	s_delay_alu instid0(SALU_CYCLE_1)
	s_or_b32 s3, s6, s3
	ds_bpermute_b32 v7, v9, v3
	s_or_b32 s3, s7, s3
	s_wait_dscnt 0x0
	v_cmp_lt_f32_e32 vcc_lo, v3, v7
	v_cndmask_b32_e32 v7, v3, v7, vcc_lo
	s_delay_alu instid0(VALU_DEP_1) | instskip(SKIP_4) | instid1(VALU_DEP_1)
	v_cndmask_b32_e64 v3, v3, v7, s4
	ds_bpermute_b32 v7, v10, v3
	s_wait_dscnt 0x0
	v_cmp_lt_f32_e32 vcc_lo, v3, v7
	v_cndmask_b32_e32 v7, v3, v7, vcc_lo
	v_cndmask_b32_e64 v3, v3, v7, s5
	ds_bpermute_b32 v7, v11, v3
	s_wait_dscnt 0x0
	v_cmp_lt_f32_e32 vcc_lo, v3, v7
	v_cndmask_b32_e32 v7, v3, v7, vcc_lo
	s_delay_alu instid0(VALU_DEP_1) | instskip(SKIP_4) | instid1(VALU_DEP_1)
	v_cndmask_b32_e64 v3, v3, v7, s6
	ds_bpermute_b32 v7, v12, v3
	s_wait_dscnt 0x0
	v_cmp_lt_f32_e32 vcc_lo, v3, v7
	v_cndmask_b32_e32 v7, v3, v7, vcc_lo
	v_cndmask_b32_e64 v3, v3, v7, s7
	ds_bpermute_b32 v2, v2, v3
	s_wait_dscnt 0x0
	v_cmp_lt_f32_e32 vcc_lo, v3, v2
	s_and_b32 vcc_lo, s10, vcc_lo
	v_cndmask_b32_e32 v2, v3, v2, vcc_lo
	s_or_b32 vcc_lo, s10, s3
	s_delay_alu instid0(VALU_DEP_1)
	v_cndmask_b32_e32 v2, v13, v2, vcc_lo
	s_and_saveexec_b32 s3, s8
; %bb.16:
	v_lshrrev_b32_e32 v3, 4, v0
	s_delay_alu instid0(VALU_DEP_1)
	v_and_b32_e32 v3, 60, v3
	ds_store_b32 v3, v2 offset:192
; %bb.17:
	s_or_b32 exec_lo, exec_lo, s3
	s_wait_dscnt 0x0
	s_barrier_signal -1
	s_barrier_wait -1
	s_and_saveexec_b32 s5, s9
	s_cbranch_execz .LBB14_19
; %bb.18:
	ds_load_b32 v2, v8 offset:192
	v_cmp_ne_u32_e32 vcc_lo, 15, v5
	s_add_co_i32 s3, s36, 63
	v_add_nc_u32_e32 v7, 1, v5
	s_lshr_b32 s4, s3, 6
	v_cmp_gt_u32_e64 s3, 12, v5
	v_add_co_ci_u32_e64 v3, null, 0, v1, vcc_lo
	v_cmp_gt_u32_e32 vcc_lo, 14, v5
	s_delay_alu instid0(VALU_DEP_3) | instskip(NEXT) | instid1(VALU_DEP_3)
	v_cndmask_b32_e64 v9, 0, 4, s3
	v_lshlrev_b32_e32 v3, 2, v3
	v_cndmask_b32_e64 v8, 0, 2, vcc_lo
	s_delay_alu instid0(VALU_DEP_1) | instskip(NEXT) | instid1(VALU_DEP_4)
	v_add_lshl_u32 v8, v8, v1, 2
	v_add_lshl_u32 v1, v9, v1, 2
	s_wait_dscnt 0x0
	ds_bpermute_b32 v3, v3, v2
	s_wait_dscnt 0x0
	v_cmp_lt_f32_e32 vcc_lo, v2, v3
	v_cndmask_b32_e32 v3, v2, v3, vcc_lo
	v_cmp_gt_u32_e32 vcc_lo, s4, v7
	s_delay_alu instid0(VALU_DEP_2) | instskip(SKIP_4) | instid1(VALU_DEP_1)
	v_cndmask_b32_e32 v3, v2, v3, vcc_lo
	ds_bpermute_b32 v7, v8, v3
	v_add_nc_u32_e32 v8, 2, v5
	s_wait_dscnt 0x0
	v_cmp_lt_f32_e64 s3, v3, v7
	v_cndmask_b32_e64 v7, v3, v7, s3
	s_delay_alu instid0(VALU_DEP_3) | instskip(NEXT) | instid1(VALU_DEP_1)
	v_cmp_gt_u32_e64 s3, s4, v8
	v_dual_cndmask_b32 v3, v3, v7, s3 :: v_dual_add_nc_u32 v7, 4, v5
	v_add_nc_u32_e32 v5, 8, v5
	ds_bpermute_b32 v1, v1, v3
	s_wait_dscnt 0x0
	v_cmp_lt_f32_e64 s3, v3, v1
	s_delay_alu instid0(VALU_DEP_1) | instskip(SKIP_1) | instid1(VALU_DEP_1)
	v_cndmask_b32_e64 v1, v3, v1, s3
	v_cmp_gt_u32_e64 s3, s4, v7
	v_cndmask_b32_e64 v1, v3, v1, s3
	v_cmp_gt_u32_e64 s3, s4, v5
	ds_bpermute_b32 v3, v6, v1
	s_wait_dscnt 0x0
	v_cmp_lt_f32_e64 s4, v1, v3
	s_and_b32 s3, s3, s4
	s_delay_alu instid0(SALU_CYCLE_1) | instskip(NEXT) | instid1(VALU_DEP_1)
	v_cndmask_b32_e64 v1, v1, v3, s3
	v_cndmask_b32_e32 v2, v2, v1, vcc_lo
.LBB14_19:
	s_or_b32 exec_lo, exec_lo, s5
	s_and_saveexec_b32 s3, s11
	s_cbranch_execz .LBB14_23
; %bb.20:
	s_cmp_eq_u64 s[24:25], 0
	s_cbranch_scc1 .LBB14_22
; %bb.21:
	s_load_b32 s4, s[24:25], 0x0
	v_max_num_f32_e32 v1, v2, v2
	s_wait_kmcnt 0x0
	v_max_num_f32_e64 v2, s4, s4
	s_delay_alu instid0(VALU_DEP_1)
	v_min_num_f32_e32 v2, v1, v2
.LBB14_22:
	s_delay_alu instid0(VALU_DEP_1)
	v_div_scale_f32 v1, null, 0x42fe0000, 0x42fe0000, v2
	v_div_scale_f32 v6, vcc_lo, v2, 0x42fe0000, v2
	s_lshl_b64 s[4:5], s[30:31], 2
	v_rcp_f32_e32 v3, v1
	s_add_nc_u64 s[4:5], s[18:19], s[4:5]
	v_nop
	s_delay_alu instid0(TRANS32_DEP_1) | instskip(NEXT) | instid1(VALU_DEP_1)
	v_fma_f32 v5, -v1, v3, 1.0
	v_fmac_f32_e32 v3, v5, v3
	s_delay_alu instid0(VALU_DEP_1) | instskip(NEXT) | instid1(VALU_DEP_1)
	v_mul_f32_e32 v5, v6, v3
	v_fma_f32 v7, -v1, v5, v6
	s_delay_alu instid0(VALU_DEP_1) | instskip(NEXT) | instid1(VALU_DEP_1)
	v_fmac_f32_e32 v5, v7, v3
	v_fma_f32 v1, -v1, v5, v6
	s_delay_alu instid0(VALU_DEP_1) | instskip(NEXT) | instid1(VALU_DEP_1)
	v_div_fmas_f32 v1, v1, v3, v5
	v_div_fixup_f32 v1, v1, 0x42fe0000, v2
	s_delay_alu instid0(VALU_DEP_1)
	v_dual_mov_b32 v2, 0 :: v_dual_max_num_f32 v1, 0x34000000, v1
	ds_store_b32 v2, v1 offset:268
	global_store_b32 v2, v1, s[4:5]
.LBB14_23:
	s_wait_xcnt 0x0
	s_or_b32 exec_lo, exec_lo, s3
	s_wait_storecnt_dscnt 0x0
	s_barrier_signal -1
	s_barrier_wait -1
	s_and_saveexec_b32 s3, s2
	s_cbranch_execz .LBB14_26
; %bb.24:
	v_mov_b32_e32 v3, 0
	s_mov_b32 s4, 0
	ds_load_b32 v1, v3 offset:268
	s_wait_dscnt 0x0
	v_div_scale_f32 v2, null, v1, v1, 1.0
	v_div_scale_f32 v7, vcc_lo, 1.0, v1, 1.0
	s_delay_alu instid0(VALU_DEP_2)
	v_rcp_f32_e32 v5, v2
	v_nop
	v_xor_b32_e32 v2, 0x80000000, v2
	s_delay_alu instid0(TRANS32_DEP_1) | instid1(VALU_DEP_1)
	v_fma_f32 v6, v2, v5, 1.0
	s_delay_alu instid0(VALU_DEP_1) | instskip(NEXT) | instid1(VALU_DEP_1)
	v_fmac_f32_e32 v5, v6, v5
	v_mul_f32_e32 v6, v7, v5
	s_delay_alu instid0(VALU_DEP_1) | instskip(NEXT) | instid1(VALU_DEP_1)
	v_fma_f32 v8, v2, v6, v7
	v_fmac_f32_e32 v6, v8, v5
	s_delay_alu instid0(VALU_DEP_1) | instskip(NEXT) | instid1(VALU_DEP_1)
	v_fmac_f32_e32 v7, v2, v6
	v_div_fmas_f32 v2, v7, v5, v6
	s_delay_alu instid0(VALU_DEP_1)
	v_div_fixup_f32 v1, v2, v1, 1.0
	v_mov_b32_e32 v2, v0
.LBB14_25:                              ; =>This Inner Loop Header: Depth=1
	s_delay_alu instid0(VALU_DEP_1) | instskip(NEXT) | instid1(VALU_DEP_1)
	v_add_nc_u64_e32 v[6:7], s[28:29], v[2:3]
	v_lshlrev_b64_e32 v[8:9], 1, v[6:7]
	v_add_nc_u64_e32 v[6:7], s[16:17], v[6:7]
	s_delay_alu instid0(VALU_DEP_2)
	v_add_nc_u64_e32 v[10:11], s[20:21], v[8:9]
	v_add_nc_u64_e32 v[8:9], s[14:15], v[8:9]
	global_load_u16 v5, v[10:11], off
	global_load_u16 v12, v[8:9], off
	global_load_u16 v13, v2, s[22:23] scale_offset
	s_wait_loadcnt 0x2
	s_wait_xcnt 0x0
	v_dual_add_nc_u32 v2, s36, v2 :: v_dual_lshlrev_b32 v5, 16, v5
	s_wait_loadcnt 0x0
	v_dual_lshlrev_b32 v10, 16, v12 :: v_dual_lshlrev_b32 v12, 16, v13
	s_delay_alu instid0(VALU_DEP_1) | instskip(NEXT) | instid1(VALU_DEP_1)
	v_add_f32_e32 v5, v10, v5
	v_mul_f32_e32 v10, v4, v5
	s_delay_alu instid0(VALU_DEP_1) | instskip(SKIP_1) | instid1(VALU_DEP_2)
	v_bfe_u32 v11, v10, 16, 1
	v_cmp_o_f32_e32 vcc_lo, v10, v10
	v_add3_u32 v11, v10, v11, 0x7fff
	s_delay_alu instid0(VALU_DEP_1) | instskip(NEXT) | instid1(VALU_DEP_1)
	v_and_b32_e32 v11, 0xffff0000, v11
	v_cndmask_b32_e32 v10, 0x7fc00000, v11, vcc_lo
	v_cmp_o_f32_e64 s2, v5, v5
	s_delay_alu instid0(VALU_DEP_2) | instskip(NEXT) | instid1(VALU_DEP_1)
	v_mul_f32_e32 v10, v10, v12
	v_bfe_u32 v11, v10, 16, 1
	v_cmp_o_f32_e32 vcc_lo, v10, v10
	s_delay_alu instid0(VALU_DEP_2) | instskip(NEXT) | instid1(VALU_DEP_1)
	v_add3_u32 v11, v10, v11, 0x7fff
	v_and_b32_e32 v11, 0xffff0000, v11
	s_delay_alu instid0(VALU_DEP_1) | instskip(SKIP_1) | instid1(VALU_DEP_2)
	v_cndmask_b32_e32 v10, 0x7fc00000, v11, vcc_lo
	v_bfe_u32 v11, v5, 16, 1
	v_mul_f32_e32 v10, v1, v10
	s_delay_alu instid0(VALU_DEP_2) | instskip(NEXT) | instid1(VALU_DEP_2)
	v_add3_u32 v11, v5, v11, 0x7fff
	v_rndne_f32_e32 v10, v10
	s_delay_alu instid0(VALU_DEP_2) | instskip(NEXT) | instid1(VALU_DEP_2)
	v_lshrrev_b32_e32 v11, 16, v11
	v_cmp_nlt_f32_e32 vcc_lo, 0x42fe0000, v10
	s_delay_alu instid0(VALU_DEP_2) | instskip(SKIP_2) | instid1(VALU_DEP_2)
	v_cndmask_b32_e64 v5, 0x7fc0, v11, s2
	v_cndmask_b32_e32 v12, 0x42fe0000, v10, vcc_lo
	v_cmp_ngt_f32_e32 vcc_lo, 0xc3000000, v10
	v_cndmask_b32_e32 v10, 0xc3000000, v12, vcc_lo
	v_cmp_le_u32_e32 vcc_lo, s27, v2
	s_delay_alu instid0(VALU_DEP_2)
	v_cvt_i32_f32_e32 v10, v10
	s_or_b32 s4, vcc_lo, s4
	global_store_b16 v[8:9], v5, off
	global_store_b8 v[6:7], v10, off
	s_wait_xcnt 0x0
	s_and_not1_b32 exec_lo, exec_lo, s4
	s_cbranch_execnz .LBB14_25
.LBB14_26:
	s_or_b32 exec_lo, exec_lo, s3
	s_branch .LBB14_71
.LBB14_27:
	s_cbranch_execz .LBB14_71
; %bb.28:
	s_load_b32 s1, s[0:1], 0x38
	s_bfe_u32 s2, ttmp6, 0x4000c
	s_wait_xcnt 0x0
	s_and_b32 s0, ttmp6, 15
	s_add_co_i32 s2, s2, 1
	s_mov_b32 s31, 0
	s_mul_i32 s2, ttmp9, s2
	v_mov_b32_e32 v1, 0
	s_add_co_i32 s0, s0, s2
	s_cmp_eq_u32 s33, 0
	s_mov_b32 s2, s27
	s_cselect_b32 s30, ttmp9, s0
	s_ashr_i32 s3, s27, 31
	s_ashr_i32 s11, s27, 2
	s_mul_u64 s[28:29], s[2:3], s[30:31]
	v_cmp_gt_u32_e64 s0, s11, v0
	s_lshl_b64 s[2:3], s[28:29], 1
	s_delay_alu instid0(SALU_CYCLE_1)
	s_add_nc_u64 s[12:13], s[20:21], s[2:3]
	s_add_nc_u64 s[14:15], s[14:15], s[2:3]
	s_and_saveexec_b32 s2, s0
	s_cbranch_execz .LBB14_38
; %bb.29:
	s_wait_kmcnt 0x0
	s_cmp_lt_u32 s30, s1
	s_mov_b32 s5, s31
	s_cselect_b32 s4, 12, 18
	v_dual_mov_b32 v1, 0 :: v_dual_mov_b32 v2, v0
	s_add_nc_u64 s[4:5], s[34:35], s[4:5]
	s_mov_b32 s6, s31
	s_load_u16 s3, s[4:5], 0x0
                                        ; implicit-def: $sgpr8
	s_wait_kmcnt 0x0
	s_lshl_b32 s4, s3, 1
	s_mul_i32 s5, s3, 3
	s_add_co_i32 s7, s3, s3
	s_branch .LBB14_33
.LBB14_30:                              ;   in Loop: Header=BB14_33 Depth=1
	s_or_b32 exec_lo, exec_lo, s20
	s_delay_alu instid0(SALU_CYCLE_1)
	s_or_not1_b32 s20, s21, exec_lo
.LBB14_31:                              ;   in Loop: Header=BB14_33 Depth=1
	s_or_b32 exec_lo, exec_lo, s10
	s_delay_alu instid0(SALU_CYCLE_1) | instskip(SKIP_1) | instid1(SALU_CYCLE_1)
	s_and_not1_b32 s8, s8, exec_lo
	s_and_b32 s10, s20, exec_lo
	s_or_b32 s8, s8, s10
.LBB14_32:                              ;   in Loop: Header=BB14_33 Depth=1
	s_or_b32 exec_lo, exec_lo, s9
	s_delay_alu instid0(SALU_CYCLE_1) | instskip(NEXT) | instid1(SALU_CYCLE_1)
	s_and_b32 s9, exec_lo, s8
	s_or_b32 s6, s9, s6
	s_delay_alu instid0(SALU_CYCLE_1)
	s_and_not1_b32 exec_lo, exec_lo, s6
	s_cbranch_execz .LBB14_37
.LBB14_33:                              ; =>This Inner Loop Header: Depth=1
	s_clause 0x1
	global_load_b64 v[4:5], v2, s[12:13] scale_offset
	global_load_b64 v[6:7], v2, s[14:15] scale_offset
	s_or_b32 s8, s8, exec_lo
	s_mov_b32 s9, exec_lo
	s_wait_loadcnt 0x0
	v_dual_lshlrev_b32 v3, 16, v4 :: v_dual_lshlrev_b32 v8, 16, v6
	v_and_b32_e32 v9, 0xffff0000, v4
	v_alignbit_b32 v4, v5, v4, 16
	v_and_b32_e32 v10, 0xffff0000, v6
	v_alignbit_b32 v6, v7, v6, 16
	v_add_f32_e32 v3, v3, v8
	s_delay_alu instid0(VALU_DEP_4) | instskip(NEXT) | instid1(VALU_DEP_4)
	v_and_b32_e32 v4, 0xffff0000, v4
	v_add_f32_e32 v8, v9, v10
	s_delay_alu instid0(VALU_DEP_4) | instskip(NEXT) | instid1(VALU_DEP_4)
	v_and_b32_e32 v6, 0xffff0000, v6
	v_fmac_f32_e32 v1, v3, v3
	v_and_b32_e32 v3, 0xffff0000, v5
	v_and_b32_e32 v5, 0xffff0000, v7
	s_delay_alu instid0(VALU_DEP_4) | instskip(NEXT) | instid1(VALU_DEP_2)
	v_add_f32_e32 v4, v4, v6
	v_dual_fmac_f32 v1, v8, v8 :: v_dual_add_f32 v5, v3, v5
	s_delay_alu instid0(VALU_DEP_1) | instskip(NEXT) | instid1(VALU_DEP_1)
	v_dual_add_nc_u32 v3, s3, v2 :: v_dual_fmac_f32 v1, v4, v4
	v_fmac_f32_e32 v1, v5, v5
	s_wait_xcnt 0x0
	s_delay_alu instid0(VALU_DEP_2)
	v_cmpx_gt_u32_e64 s11, v3
	s_cbranch_execz .LBB14_32
; %bb.34:                               ;   in Loop: Header=BB14_33 Depth=1
	s_clause 0x1
	global_load_b64 v[4:5], v3, s[12:13] scale_offset
	global_load_b64 v[6:7], v3, s[14:15] scale_offset
	s_mov_b32 s20, -1
	s_mov_b32 s10, exec_lo
	s_wait_loadcnt 0x0
	v_dual_lshlrev_b32 v8, 16, v4 :: v_dual_lshlrev_b32 v9, 16, v6
	v_and_b32_e32 v10, 0xffff0000, v4
	v_alignbit_b32 v4, v5, v4, 16
	v_and_b32_e32 v11, 0xffff0000, v6
	v_alignbit_b32 v6, v7, v6, 16
	v_add_f32_e32 v8, v8, v9
	v_and_b32_e32 v5, 0xffff0000, v5
	v_and_b32_e32 v4, 0xffff0000, v4
	v_add_f32_e32 v9, v10, v11
	v_and_b32_e32 v6, 0xffff0000, v6
	v_and_b32_e32 v7, 0xffff0000, v7
	s_delay_alu instid0(VALU_DEP_1) | instskip(NEXT) | instid1(VALU_DEP_1)
	v_dual_fmac_f32 v1, v8, v8 :: v_dual_add_f32 v5, v5, v7
	v_dual_add_f32 v4, v4, v6 :: v_dual_fmac_f32 v1, v9, v9
	s_delay_alu instid0(VALU_DEP_1) | instskip(NEXT) | instid1(VALU_DEP_1)
	v_dual_fmac_f32 v1, v4, v4 :: v_dual_add_nc_u32 v4, s4, v2
	v_fmac_f32_e32 v1, v5, v5
	s_wait_xcnt 0x0
	s_delay_alu instid0(VALU_DEP_2)
	v_cmpx_gt_u32_e64 s11, v4
	s_cbranch_execz .LBB14_31
; %bb.35:                               ;   in Loop: Header=BB14_33 Depth=1
	s_clause 0x1
	global_load_b64 v[6:7], v4, s[12:13] scale_offset
	global_load_b64 v[8:9], v4, s[14:15] scale_offset
	s_mov_b32 s21, -1
	s_mov_b32 s20, exec_lo
	s_wait_loadcnt 0x0
	v_dual_lshlrev_b32 v4, 16, v6 :: v_dual_lshlrev_b32 v5, 16, v8
	v_and_b32_e32 v10, 0xffff0000, v6
	v_alignbit_b32 v6, v7, v6, 16
	v_and_b32_e32 v11, 0xffff0000, v8
	v_alignbit_b32 v8, v9, v8, 16
	v_add_f32_e32 v4, v4, v5
	s_delay_alu instid0(VALU_DEP_4) | instskip(NEXT) | instid1(VALU_DEP_4)
	v_and_b32_e32 v5, 0xffff0000, v6
	v_add_f32_e32 v6, v10, v11
	s_delay_alu instid0(VALU_DEP_4) | instskip(NEXT) | instid1(VALU_DEP_4)
	v_and_b32_e32 v8, 0xffff0000, v8
	v_fmac_f32_e32 v1, v4, v4
	v_and_b32_e32 v4, 0xffff0000, v7
	v_and_b32_e32 v7, 0xffff0000, v9
	s_delay_alu instid0(VALU_DEP_3) | instskip(NEXT) | instid1(VALU_DEP_2)
	v_dual_add_f32 v5, v5, v8 :: v_dual_fmac_f32 v1, v6, v6
	v_dual_add_f32 v6, v4, v7 :: v_dual_add_nc_u32 v4, s5, v2
                                        ; implicit-def: $vgpr2
	s_delay_alu instid0(VALU_DEP_2) | instskip(NEXT) | instid1(VALU_DEP_1)
	v_fmac_f32_e32 v1, v5, v5
	v_fmac_f32_e32 v1, v6, v6
	s_delay_alu instid0(VALU_DEP_3)
	v_cmpx_gt_u32_e64 s11, v4
	s_xor_b32 s20, exec_lo, s20
	s_cbranch_execz .LBB14_30
; %bb.36:                               ;   in Loop: Header=BB14_33 Depth=1
	s_clause 0x1
	global_load_b64 v[6:7], v4, s[12:13] scale_offset
	global_load_b64 v[8:9], v4, s[14:15] scale_offset
	s_wait_loadcnt 0x0
	v_dual_lshlrev_b32 v2, 16, v6 :: v_dual_lshlrev_b32 v4, 16, v8
	v_and_b32_e32 v5, 0xffff0000, v6
	v_alignbit_b32 v6, v7, v6, 16
	v_alignbit_b32 v10, v9, v8, 16
	v_and_b32_e32 v8, 0xffff0000, v8
	v_add_f32_e32 v2, v2, v4
	v_and_b32_e32 v7, 0xffff0000, v7
	v_and_b32_e32 v4, 0xffff0000, v6
	;; [unrolled: 1-line block ×3, first 2 shown]
	s_delay_alu instid0(VALU_DEP_1) | instskip(SKIP_3) | instid1(VALU_DEP_2)
	v_dual_add_f32 v4, v4, v6 :: v_dual_add_f32 v5, v5, v8
	v_fmac_f32_e32 v1, v2, v2
	v_and_b32_e32 v6, 0xffff0000, v9
	v_add3_u32 v2, s7, s3, v3
	v_dual_fmac_f32 v1, v5, v5 :: v_dual_add_f32 v3, v7, v6
	s_delay_alu instid0(VALU_DEP_2) | instskip(NEXT) | instid1(VALU_DEP_2)
	v_cmp_le_u32_e32 vcc_lo, s11, v2
	v_fmac_f32_e32 v1, v4, v4
	s_or_not1_b32 s21, vcc_lo, exec_lo
	s_delay_alu instid0(VALU_DEP_1)
	v_fmac_f32_e32 v1, v3, v3
	s_branch .LBB14_30
.LBB14_37:
	s_or_b32 exec_lo, exec_lo, s6
.LBB14_38:
	s_delay_alu instid0(SALU_CYCLE_1)
	s_or_b32 exec_lo, exec_lo, s2
	v_mbcnt_lo_u32_b32 v2, -1, 0
	s_wait_kmcnt 0x0
	s_cmp_lt_u32 s30, s1
	s_mov_b32 s3, 0
	s_cselect_b32 s2, 12, 18
	v_and_b32_e32 v5, 0x3c0, v0
	v_cmp_ne_u32_e32 vcc_lo, 63, v2
	s_add_nc_u64 s[2:3], s[34:35], s[2:3]
	v_cmp_eq_u32_e64 s6, 0, v2
	s_load_u16 s20, s[2:3], 0x0
	v_add_nc_u32_e32 v6, 1, v2
	v_add_co_ci_u32_e64 v3, null, 0, v2, vcc_lo
	v_cmp_gt_u32_e32 vcc_lo, 62, v2
	v_dual_add_nc_u32 v8, 4, v2 :: v_dual_add_nc_u32 v10, 8, v2
	s_delay_alu instid0(VALU_DEP_3)
	v_lshlrev_b32_e32 v4, 2, v3
	v_cndmask_b32_e64 v7, 0, 2, vcc_lo
	v_cmp_gt_u32_e32 vcc_lo, 60, v2
	ds_bpermute_b32 v3, v4, v1
	s_wait_kmcnt 0x0
	v_sub_nc_u32_e64 v9, s20, v5 clamp
	v_add_lshl_u32 v5, v7, v2, 2
	v_add_nc_u32_e32 v7, 2, v2
	s_delay_alu instid0(VALU_DEP_3) | instskip(SKIP_1) | instid1(VALU_DEP_3)
	v_cmp_lt_u32_e64 s1, v6, v9
	v_cndmask_b32_e64 v6, 0, 4, vcc_lo
	v_cmp_lt_u32_e64 s2, v7, v9
	v_cmp_gt_u32_e32 vcc_lo, 56, v2
	v_cmp_lt_u32_e64 s3, v8, v9
	v_cmp_lt_u32_e64 s4, v10, v9
	v_add_lshl_u32 v6, v6, v2, 2
	s_wait_dscnt 0x0
	v_dual_add_f32 v3, v1, v3 :: v_dual_add_nc_u32 v10, 16, v2
	v_cndmask_b32_e64 v7, 0, 8, vcc_lo
	v_cmp_gt_u32_e32 vcc_lo, 48, v2
	s_delay_alu instid0(VALU_DEP_3) | instskip(NEXT) | instid1(VALU_DEP_4)
	v_cndmask_b32_e64 v1, v1, v3, s1
	v_cmp_lt_u32_e64 s5, v10, v9
	s_delay_alu instid0(VALU_DEP_4)
	v_add_lshl_u32 v7, v7, v2, 2
	v_cndmask_b32_e64 v8, 0, 16, vcc_lo
	ds_bpermute_b32 v3, v5, v1
	v_add_lshl_u32 v8, v8, v2, 2
	s_wait_dscnt 0x0
	v_add_f32_e32 v3, v1, v3
	s_delay_alu instid0(VALU_DEP_1) | instskip(SKIP_3) | instid1(VALU_DEP_1)
	v_cndmask_b32_e64 v1, v1, v3, s2
	ds_bpermute_b32 v3, v6, v1
	s_wait_dscnt 0x0
	v_add_f32_e32 v3, v1, v3
	v_cndmask_b32_e64 v1, v1, v3, s3
	ds_bpermute_b32 v3, v7, v1
	s_wait_dscnt 0x0
	v_add_f32_e32 v3, v1, v3
	s_delay_alu instid0(VALU_DEP_1) | instskip(SKIP_3) | instid1(VALU_DEP_1)
	v_cndmask_b32_e64 v1, v1, v3, s4
	ds_bpermute_b32 v3, v8, v1
	s_wait_dscnt 0x0
	v_dual_add_f32 v11, v1, v3 :: v_dual_lshlrev_b32 v3, 2, v2
	v_dual_cndmask_b32 v1, v1, v11, s5 :: v_dual_bitop2_b32 v11, 32, v2 bitop3:0x54
	ds_bpermute_b32 v10, v3, v1 offset:128
	v_cmp_lt_u32_e64 s8, v11, v9
	s_wait_dscnt 0x0
	v_add_f32_e32 v10, v1, v10
	s_delay_alu instid0(VALU_DEP_1)
	v_cndmask_b32_e64 v1, v1, v10, s8
	s_and_saveexec_b32 s7, s6
; %bb.39:
	v_lshrrev_b32_e32 v9, 4, v0
	s_delay_alu instid0(VALU_DEP_1)
	v_and_b32_e32 v9, 60, v9
	ds_store_b32 v9, v1
; %bb.40:
	s_or_b32 exec_lo, exec_lo, s7
	v_cmp_gt_u32_e64 s7, 16, v0
	s_wait_storecnt_dscnt 0x0
	s_barrier_signal -1
	s_barrier_wait -1
	s_and_saveexec_b32 s10, s7
	s_cbranch_execz .LBB14_42
; %bb.41:
	ds_load_b32 v1, v3
	v_and_b32_e32 v9, 15, v2
	s_add_co_i32 s9, s20, 63
	s_delay_alu instid0(SALU_CYCLE_1) | instskip(NEXT) | instid1(VALU_DEP_1)
	s_lshr_b32 s21, s9, 6
	v_cmp_ne_u32_e32 vcc_lo, 15, v9
	v_add_nc_u32_e32 v12, 1, v9
	v_add_co_ci_u32_e64 v10, null, 0, v2, vcc_lo
	v_cmp_gt_u32_e32 vcc_lo, 14, v9
	s_delay_alu instid0(VALU_DEP_2)
	v_lshlrev_b32_e32 v10, 2, v10
	v_cndmask_b32_e64 v11, 0, 2, vcc_lo
	v_cmp_gt_u32_e32 vcc_lo, s21, v12
	s_wait_dscnt 0x0
	ds_bpermute_b32 v10, v10, v1
	v_add_lshl_u32 v11, v11, v2, 2
	s_wait_dscnt 0x0
	v_add_f32_e32 v10, v1, v10
	s_delay_alu instid0(VALU_DEP_1)
	v_cndmask_b32_e32 v10, v1, v10, vcc_lo
	ds_bpermute_b32 v11, v11, v10
	s_wait_dscnt 0x0
	v_add_f32_e32 v11, v10, v11
	v_cmp_gt_u32_e64 s9, 12, v9
	v_add_nc_u32_e32 v13, 2, v9
	s_delay_alu instid0(VALU_DEP_2) | instskip(NEXT) | instid1(VALU_DEP_2)
	v_cndmask_b32_e64 v12, 0, 4, s9
	v_cmp_gt_u32_e64 s9, s21, v13
	s_delay_alu instid0(VALU_DEP_2) | instskip(NEXT) | instid1(VALU_DEP_2)
	v_add_lshl_u32 v12, v12, v2, 2
	v_cndmask_b32_e64 v10, v10, v11, s9
	ds_bpermute_b32 v11, v12, v10
	v_dual_add_nc_u32 v12, 4, v9 :: v_dual_add_nc_u32 v9, 8, v9
	s_delay_alu instid0(VALU_DEP_1) | instskip(SKIP_2) | instid1(VALU_DEP_1)
	v_cmp_gt_u32_e64 s9, s21, v12
	s_wait_dscnt 0x0
	v_add_f32_e32 v11, v10, v11
	v_cndmask_b32_e64 v10, v10, v11, s9
	v_or_b32_e32 v11, 32, v3
	v_cmp_gt_u32_e64 s9, s21, v9
	ds_bpermute_b32 v11, v11, v10
	s_wait_dscnt 0x0
	v_add_f32_e32 v11, v10, v11
	s_delay_alu instid0(VALU_DEP_1) | instskip(NEXT) | instid1(VALU_DEP_1)
	v_cndmask_b32_e64 v9, v10, v11, s9
	v_cndmask_b32_e32 v1, v1, v9, vcc_lo
.LBB14_42:
	s_or_b32 exec_lo, exec_lo, s10
	v_cmp_eq_u32_e64 s9, 0, v0
	s_and_saveexec_b32 s10, s9
	s_cbranch_execz .LBB14_44
; %bb.43:
	s_cvt_f32_i32 s21, s27
	s_delay_alu instid0(SALU_CYCLE_3) | instskip(SKIP_1) | instid1(VALU_DEP_2)
	v_div_scale_f32 v9, null, s21, s21, v1
	v_div_scale_f32 v12, vcc_lo, v1, s21, v1
	v_rcp_f32_e32 v10, v9
	v_nop
	s_delay_alu instid0(TRANS32_DEP_1) | instskip(NEXT) | instid1(VALU_DEP_1)
	v_fma_f32 v11, -v9, v10, 1.0
	v_fmac_f32_e32 v10, v11, v10
	s_delay_alu instid0(VALU_DEP_1) | instskip(NEXT) | instid1(VALU_DEP_1)
	v_mul_f32_e32 v11, v12, v10
	v_fma_f32 v13, -v9, v11, v12
	s_delay_alu instid0(VALU_DEP_1) | instskip(NEXT) | instid1(VALU_DEP_1)
	v_fmac_f32_e32 v11, v13, v10
	v_fma_f32 v9, -v9, v11, v12
	s_delay_alu instid0(VALU_DEP_1) | instskip(NEXT) | instid1(VALU_DEP_1)
	v_div_fmas_f32 v9, v9, v10, v11
	v_div_fixup_f32 v1, v9, s21, v1
	s_delay_alu instid0(VALU_DEP_1) | instskip(NEXT) | instid1(VALU_DEP_1)
	v_add_f32_e32 v1, s26, v1
	v_mul_f32_e32 v9, 0x4b800000, v1
	v_cmp_gt_f32_e32 vcc_lo, 0x800000, v1
	s_delay_alu instid0(VALU_DEP_2) | instskip(NEXT) | instid1(VALU_DEP_1)
	v_cndmask_b32_e32 v1, v1, v9, vcc_lo
	v_rsq_f32_e32 v1, v1
	v_nop
	s_delay_alu instid0(TRANS32_DEP_1) | instskip(NEXT) | instid1(VALU_DEP_1)
	v_mul_f32_e32 v9, 0x45800000, v1
	v_dual_cndmask_b32 v1, v1, v9, vcc_lo :: v_dual_mov_b32 v9, 0
	ds_store_b32 v9, v1 offset:256
.LBB14_44:
	s_or_b32 exec_lo, exec_lo, s10
	v_mov_b32_e32 v9, 0
	s_wait_dscnt 0x0
	s_barrier_signal -1
	s_barrier_wait -1
	ds_load_b32 v1, v9 offset:256
	s_and_saveexec_b32 s21, s0
	s_cbranch_execz .LBB14_54
; %bb.45:
	v_dual_mov_b32 v9, 0 :: v_dual_mov_b32 v10, v0
	s_lshl_b32 s26, s20, 1
	s_mul_i32 s33, s20, 3
	s_mov_b32 s27, 0
	s_add_co_i32 s34, s20, s20
                                        ; implicit-def: $sgpr35
	s_branch .LBB14_49
.LBB14_46:                              ;   in Loop: Header=BB14_49 Depth=1
	s_or_b32 exec_lo, exec_lo, s38
	s_delay_alu instid0(SALU_CYCLE_1)
	s_or_not1_b32 s10, s10, exec_lo
.LBB14_47:                              ;   in Loop: Header=BB14_49 Depth=1
	s_or_b32 exec_lo, exec_lo, s37
	s_delay_alu instid0(SALU_CYCLE_1) | instskip(SKIP_1) | instid1(SALU_CYCLE_1)
	s_and_not1_b32 s35, s35, exec_lo
	s_and_b32 s10, s10, exec_lo
	s_or_b32 s35, s35, s10
.LBB14_48:                              ;   in Loop: Header=BB14_49 Depth=1
	s_or_b32 exec_lo, exec_lo, s36
	s_delay_alu instid0(SALU_CYCLE_1) | instskip(NEXT) | instid1(SALU_CYCLE_1)
	s_and_b32 s10, exec_lo, s35
	s_or_b32 s27, s10, s27
	s_delay_alu instid0(SALU_CYCLE_1)
	s_and_not1_b32 exec_lo, exec_lo, s27
	s_cbranch_execz .LBB14_53
.LBB14_49:                              ; =>This Inner Loop Header: Depth=1
	s_clause 0x2
	global_load_b64 v[12:13], v10, s[12:13] scale_offset
	global_load_b64 v[14:15], v10, s[14:15] scale_offset
	;; [unrolled: 1-line block ×3, first 2 shown]
	s_or_b32 s35, s35, exec_lo
	s_mov_b32 s36, exec_lo
	s_wait_loadcnt 0x1
	v_dual_lshlrev_b32 v11, 16, v12 :: v_dual_lshlrev_b32 v18, 16, v14
	v_and_b32_e32 v19, 0xffff0000, v14
	v_alignbit_b32 v14, v15, v14, 16
	v_and_b32_e32 v15, 0xffff0000, v15
	s_delay_alu instid0(VALU_DEP_4) | instskip(SKIP_4) | instid1(VALU_DEP_4)
	v_add_f32_e32 v11, v11, v18
	v_and_b32_e32 v18, 0xffff0000, v12
	v_alignbit_b32 v12, v13, v12, 16
	v_and_b32_e32 v14, 0xffff0000, v14
	v_and_b32_e32 v13, 0xffff0000, v13
	v_add_f32_e32 v18, v18, v19
	s_wait_dscnt 0x0
	v_mul_f32_e32 v11, v1, v11
	v_and_b32_e32 v12, 0xffff0000, v12
	s_delay_alu instid0(VALU_DEP_3) | instskip(NEXT) | instid1(VALU_DEP_3)
	v_mul_f32_e32 v18, v1, v18
	v_bfe_u32 v20, v11, 16, 1
	v_cmp_o_f32_e32 vcc_lo, v11, v11
	s_delay_alu instid0(VALU_DEP_4) | instskip(NEXT) | instid1(VALU_DEP_4)
	v_dual_add_f32 v12, v12, v14 :: v_dual_max_num_f32 v14, v9, v9
	v_bfe_u32 v21, v18, 16, 1
	s_delay_alu instid0(VALU_DEP_4) | instskip(SKIP_1) | instid1(VALU_DEP_2)
	v_add3_u32 v19, v11, v20, 0x7fff
	v_add_f32_e32 v13, v13, v15
	v_and_b32_e32 v19, 0xffff0000, v19
	s_wait_loadcnt 0x0
	s_delay_alu instid0(VALU_DEP_1) | instskip(SKIP_4) | instid1(VALU_DEP_4)
	v_dual_cndmask_b32 v11, 0x7fc00000, v19 :: v_dual_lshlrev_b32 v20, 16, v16
	v_add3_u32 v19, v18, v21, 0x7fff
	v_cmp_o_f32_e32 vcc_lo, v18, v18
	v_and_b32_e32 v21, 0xffff0000, v16
	v_alignbit_b32 v16, v17, v16, 16
	v_and_b32_e32 v19, 0xffff0000, v19
	v_mul_f32_e32 v11, v11, v20
	s_delay_alu instid0(VALU_DEP_3) | instskip(NEXT) | instid1(VALU_DEP_3)
	v_and_b32_e32 v16, 0xffff0000, v16
	v_cndmask_b32_e32 v18, 0x7fc00000, v19, vcc_lo
	s_delay_alu instid0(VALU_DEP_3) | instskip(NEXT) | instid1(VALU_DEP_2)
	v_bfe_u32 v20, v11, 16, 1
	v_dual_mul_f32 v12, v1, v12 :: v_dual_mul_f32 v18, v18, v21
	s_delay_alu instid0(VALU_DEP_2) | instskip(NEXT) | instid1(VALU_DEP_2)
	v_add3_u32 v15, v11, v20, 0x7fff
	v_bfe_u32 v22, v12, 16, 1
	v_cmp_o_f32_e32 vcc_lo, v12, v12
	s_delay_alu instid0(VALU_DEP_4) | instskip(NEXT) | instid1(VALU_DEP_4)
	v_bfe_u32 v20, v18, 16, 1
	v_and_b32_e32 v15, 0xffff0000, v15
	s_delay_alu instid0(VALU_DEP_4) | instskip(NEXT) | instid1(VALU_DEP_2)
	v_add3_u32 v19, v12, v22, 0x7fff
	v_max_num_f32_e64 v15, |v15|, |v15|
	s_delay_alu instid0(VALU_DEP_2) | instskip(NEXT) | instid1(VALU_DEP_2)
	v_and_b32_e32 v19, 0xffff0000, v19
	v_dual_max_num_f32 v14, v14, v15 :: v_dual_mul_f32 v13, v1, v13
	s_delay_alu instid0(VALU_DEP_2)
	v_cndmask_b32_e32 v12, 0x7fc00000, v19, vcc_lo
	v_add3_u32 v19, v18, v20, 0x7fff
	v_cmp_u_f32_e32 vcc_lo, v11, v11
	v_and_b32_e32 v11, 0xffff0000, v17
	v_bfe_u32 v21, v13, 16, 1
	v_mul_f32_e32 v12, v12, v16
	v_and_b32_e32 v16, 0xffff0000, v19
	v_cndmask_b32_e32 v9, v14, v9, vcc_lo
	v_cmp_o_f32_e32 vcc_lo, v13, v13
	v_add3_u32 v15, v13, v21, 0x7fff
	s_delay_alu instid0(VALU_DEP_4) | instskip(NEXT) | instid1(VALU_DEP_2)
	v_max_num_f32_e64 v16, |v16|, |v16|
	v_and_b32_e32 v14, 0xffff0000, v15
	v_bfe_u32 v15, v12, 16, 1
	s_delay_alu instid0(VALU_DEP_2) | instskip(SKIP_2) | instid1(VALU_DEP_4)
	v_cndmask_b32_e32 v13, 0x7fc00000, v14, vcc_lo
	v_cmp_u_f32_e32 vcc_lo, v18, v18
	v_max_num_f32_e32 v17, v9, v9
	v_add3_u32 v14, v12, v15, 0x7fff
	s_delay_alu instid0(VALU_DEP_2) | instskip(NEXT) | instid1(VALU_DEP_1)
	v_max_num_f32_e32 v15, v17, v16
	v_cndmask_b32_e32 v9, v15, v9, vcc_lo
	v_cmp_u_f32_e32 vcc_lo, v12, v12
	s_delay_alu instid0(VALU_DEP_2) | instskip(SKIP_2) | instid1(VALU_DEP_1)
	v_max_num_f32_e32 v15, v9, v9
	v_mul_f32_e32 v13, v13, v11
	v_and_b32_e32 v11, 0xffff0000, v14
	v_max_num_f32_e64 v11, |v11|, |v11|
	s_delay_alu instid0(VALU_DEP_1) | instskip(NEXT) | instid1(VALU_DEP_4)
	v_max_num_f32_e32 v11, v15, v11
	v_bfe_u32 v14, v13, 16, 1
	s_delay_alu instid0(VALU_DEP_2) | instskip(NEXT) | instid1(VALU_DEP_2)
	v_cndmask_b32_e32 v9, v11, v9, vcc_lo
	v_add3_u32 v14, v13, v14, 0x7fff
	v_cmp_u_f32_e32 vcc_lo, v13, v13
	s_delay_alu instid0(VALU_DEP_3) | instskip(NEXT) | instid1(VALU_DEP_3)
	v_max_num_f32_e32 v12, v9, v9
	v_and_b32_e32 v14, 0xffff0000, v14
	s_delay_alu instid0(VALU_DEP_1) | instskip(NEXT) | instid1(VALU_DEP_1)
	v_max_num_f32_e64 v11, |v14|, |v14|
	v_dual_max_num_f32 v12, v12, v11 :: v_dual_add_nc_u32 v11, s20, v10
	s_delay_alu instid0(VALU_DEP_1) | instskip(NEXT) | instid1(VALU_DEP_2)
	v_cndmask_b32_e32 v9, v12, v9, vcc_lo
	v_cmpx_gt_u32_e64 s11, v11
	s_cbranch_execz .LBB14_48
; %bb.50:                               ;   in Loop: Header=BB14_49 Depth=1
	s_clause 0x2
	global_load_b64 v[12:13], v11, s[12:13] scale_offset
	global_load_b64 v[14:15], v11, s[14:15] scale_offset
	;; [unrolled: 1-line block ×3, first 2 shown]
	s_mov_b32 s10, -1
	s_mov_b32 s37, exec_lo
	s_wait_loadcnt 0x1
	v_dual_lshlrev_b32 v18, 16, v12 :: v_dual_lshlrev_b32 v19, 16, v14
	v_and_b32_e32 v20, 0xffff0000, v14
	v_alignbit_b32 v14, v15, v14, 16
	v_and_b32_e32 v15, 0xffff0000, v15
	s_delay_alu instid0(VALU_DEP_4) | instskip(SKIP_4) | instid1(VALU_DEP_4)
	v_add_f32_e32 v18, v18, v19
	v_and_b32_e32 v19, 0xffff0000, v12
	v_alignbit_b32 v12, v13, v12, 16
	v_and_b32_e32 v14, 0xffff0000, v14
	v_and_b32_e32 v13, 0xffff0000, v13
	v_dual_add_f32 v19, v19, v20 :: v_dual_mul_f32 v18, v1, v18
	s_delay_alu instid0(VALU_DEP_4) | instskip(NEXT) | instid1(VALU_DEP_3)
	v_and_b32_e32 v12, 0xffff0000, v12
	v_add_f32_e32 v13, v13, v15
	s_delay_alu instid0(VALU_DEP_3) | instskip(NEXT) | instid1(VALU_DEP_4)
	v_mul_f32_e32 v19, v1, v19
	v_bfe_u32 v21, v18, 16, 1
	v_cmp_o_f32_e32 vcc_lo, v18, v18
	s_delay_alu instid0(VALU_DEP_4) | instskip(NEXT) | instid1(VALU_DEP_4)
	v_dual_add_f32 v12, v12, v14 :: v_dual_mul_f32 v13, v1, v13
	v_bfe_u32 v22, v19, 16, 1
	s_delay_alu instid0(VALU_DEP_4) | instskip(SKIP_3) | instid1(VALU_DEP_3)
	v_add3_u32 v20, v18, v21, 0x7fff
	s_wait_loadcnt 0x0
	v_lshlrev_b32_e32 v21, 16, v16
	v_mul_f32_e32 v12, v1, v12
	v_and_b32_e32 v20, 0xffff0000, v20
	s_delay_alu instid0(VALU_DEP_2) | instskip(NEXT) | instid1(VALU_DEP_2)
	v_bfe_u32 v23, v12, 16, 1
	v_cndmask_b32_e32 v18, 0x7fc00000, v20, vcc_lo
	v_add3_u32 v20, v19, v22, 0x7fff
	v_cmp_o_f32_e32 vcc_lo, v19, v19
	v_and_b32_e32 v22, 0xffff0000, v16
	v_alignbit_b32 v16, v17, v16, 16
	v_mul_f32_e32 v18, v18, v21
	v_and_b32_e32 v20, 0xffff0000, v20
	v_max_num_f32_e32 v14, v9, v9
	s_delay_alu instid0(VALU_DEP_4) | instskip(NEXT) | instid1(VALU_DEP_4)
	v_and_b32_e32 v16, 0xffff0000, v16
	v_bfe_u32 v21, v18, 16, 1
	s_delay_alu instid0(VALU_DEP_4) | instskip(SKIP_2) | instid1(VALU_DEP_4)
	v_cndmask_b32_e32 v19, 0x7fc00000, v20, vcc_lo
	v_add3_u32 v20, v12, v23, 0x7fff
	v_cmp_o_f32_e32 vcc_lo, v12, v12
	v_add3_u32 v15, v18, v21, 0x7fff
	s_delay_alu instid0(VALU_DEP_4) | instskip(NEXT) | instid1(VALU_DEP_4)
	v_mul_f32_e32 v19, v19, v22
	v_and_b32_e32 v20, 0xffff0000, v20
	v_bfe_u32 v22, v13, 16, 1
	s_delay_alu instid0(VALU_DEP_4) | instskip(NEXT) | instid1(VALU_DEP_4)
	v_and_b32_e32 v15, 0xffff0000, v15
	v_bfe_u32 v21, v19, 16, 1
	s_delay_alu instid0(VALU_DEP_4) | instskip(SKIP_1) | instid1(VALU_DEP_4)
	v_cndmask_b32_e32 v12, 0x7fc00000, v20, vcc_lo
	v_cmp_u_f32_e32 vcc_lo, v18, v18
	v_max_num_f32_e64 v15, |v15|, |v15|
	s_delay_alu instid0(VALU_DEP_4) | instskip(NEXT) | instid1(VALU_DEP_2)
	v_add3_u32 v20, v19, v21, 0x7fff
	v_max_num_f32_e32 v14, v14, v15
	v_add3_u32 v15, v13, v22, 0x7fff
	s_delay_alu instid0(VALU_DEP_2) | instskip(NEXT) | instid1(VALU_DEP_2)
	v_cndmask_b32_e32 v9, v14, v9, vcc_lo
	v_and_b32_e32 v15, 0xffff0000, v15
	v_cmp_o_f32_e32 vcc_lo, v13, v13
	v_and_b32_e32 v14, 0xffff0000, v17
	s_delay_alu instid0(VALU_DEP_3) | instskip(SKIP_1) | instid1(VALU_DEP_2)
	v_dual_max_num_f32 v18, v9, v9 :: v_dual_cndmask_b32 v13, 0x7fc00000, v15
	v_cmp_u_f32_e32 vcc_lo, v19, v19
	v_dual_mul_f32 v13, v13, v14 :: v_dual_mul_f32 v12, v12, v16
	v_and_b32_e32 v16, 0xffff0000, v20
	s_delay_alu instid0(VALU_DEP_2) | instskip(NEXT) | instid1(VALU_DEP_2)
	v_bfe_u32 v17, v12, 16, 1
	v_max_num_f32_e64 v16, |v16|, |v16|
	s_delay_alu instid0(VALU_DEP_2) | instskip(NEXT) | instid1(VALU_DEP_2)
	v_add3_u32 v15, v12, v17, 0x7fff
	v_max_num_f32_e32 v16, v18, v16
	s_delay_alu instid0(VALU_DEP_2) | instskip(NEXT) | instid1(VALU_DEP_2)
	v_and_b32_e32 v14, 0xffff0000, v15
	v_cndmask_b32_e32 v9, v16, v9, vcc_lo
	v_bfe_u32 v15, v13, 16, 1
	v_cmp_u_f32_e32 vcc_lo, v12, v12
	s_delay_alu instid0(VALU_DEP_4) | instskip(NEXT) | instid1(VALU_DEP_4)
	v_max_num_f32_e64 v14, |v14|, |v14|
	v_max_num_f32_e32 v16, v9, v9
	s_delay_alu instid0(VALU_DEP_4) | instskip(NEXT) | instid1(VALU_DEP_2)
	v_add3_u32 v15, v13, v15, 0x7fff
	v_max_num_f32_e32 v14, v16, v14
	s_delay_alu instid0(VALU_DEP_2) | instskip(NEXT) | instid1(VALU_DEP_2)
	v_and_b32_e32 v15, 0xffff0000, v15
	v_cndmask_b32_e32 v9, v14, v9, vcc_lo
	s_delay_alu instid0(VALU_DEP_2) | instskip(SKIP_1) | instid1(VALU_DEP_3)
	v_max_num_f32_e64 v12, |v15|, |v15|
	v_cmp_u_f32_e32 vcc_lo, v13, v13
	v_max_num_f32_e32 v14, v9, v9
	s_delay_alu instid0(VALU_DEP_1) | instskip(NEXT) | instid1(VALU_DEP_1)
	v_dual_max_num_f32 v14, v14, v12 :: v_dual_add_nc_u32 v12, s26, v10
	v_cndmask_b32_e32 v9, v14, v9, vcc_lo
	s_delay_alu instid0(VALU_DEP_2)
	v_cmpx_gt_u32_e64 s11, v12
	s_cbranch_execz .LBB14_47
; %bb.51:                               ;   in Loop: Header=BB14_49 Depth=1
	s_clause 0x2
	global_load_b64 v[14:15], v12, s[12:13] scale_offset
	global_load_b64 v[16:17], v12, s[14:15] scale_offset
	;; [unrolled: 1-line block ×3, first 2 shown]
	s_mov_b32 s38, exec_lo
	s_wait_loadcnt 0x1
	s_wait_xcnt 0x0
	v_dual_lshlrev_b32 v12, 16, v14 :: v_dual_lshlrev_b32 v13, 16, v16
	v_and_b32_e32 v20, 0xffff0000, v16
	v_alignbit_b32 v16, v17, v16, 16
	v_and_b32_e32 v17, 0xffff0000, v17
	s_delay_alu instid0(VALU_DEP_4) | instskip(SKIP_4) | instid1(VALU_DEP_4)
	v_add_f32_e32 v12, v12, v13
	v_and_b32_e32 v13, 0xffff0000, v14
	v_alignbit_b32 v14, v15, v14, 16
	v_and_b32_e32 v16, 0xffff0000, v16
	v_and_b32_e32 v15, 0xffff0000, v15
	v_add_f32_e32 v13, v13, v20
	v_mul_f32_e32 v12, v1, v12
	v_and_b32_e32 v14, 0xffff0000, v14
	s_delay_alu instid0(VALU_DEP_3) | instskip(NEXT) | instid1(VALU_DEP_3)
	v_mul_f32_e32 v13, v1, v13
	v_bfe_u32 v21, v12, 16, 1
	v_cmp_o_f32_e32 vcc_lo, v12, v12
	s_delay_alu instid0(VALU_DEP_4) | instskip(NEXT) | instid1(VALU_DEP_4)
	v_dual_add_f32 v14, v14, v16 :: v_dual_max_num_f32 v16, v9, v9
	v_bfe_u32 v22, v13, 16, 1
	s_delay_alu instid0(VALU_DEP_4) | instskip(NEXT) | instid1(VALU_DEP_3)
	v_add3_u32 v20, v12, v21, 0x7fff
	v_mul_f32_e32 v14, v1, v14
	s_delay_alu instid0(VALU_DEP_2) | instskip(SKIP_2) | instid1(VALU_DEP_3)
	v_and_b32_e32 v20, 0xffff0000, v20
	s_wait_loadcnt 0x0
	v_lshlrev_b32_e32 v21, 16, v18
	v_bfe_u32 v23, v14, 16, 1
	s_delay_alu instid0(VALU_DEP_3)
	v_cndmask_b32_e32 v12, 0x7fc00000, v20, vcc_lo
	v_add3_u32 v20, v13, v22, 0x7fff
	v_and_b32_e32 v22, 0xffff0000, v18
	v_add_f32_e32 v15, v15, v17
	v_cmp_o_f32_e32 vcc_lo, v13, v13
	v_mul_f32_e32 v12, v12, v21
	v_and_b32_e32 v20, 0xffff0000, v20
	v_alignbit_b32 v18, v19, v18, 16
	s_delay_alu instid0(VALU_DEP_3) | instskip(NEXT) | instid1(VALU_DEP_2)
	v_bfe_u32 v21, v12, 16, 1
	v_and_b32_e32 v18, 0xffff0000, v18
	s_delay_alu instid0(VALU_DEP_2) | instskip(NEXT) | instid1(VALU_DEP_1)
	v_add3_u32 v17, v12, v21, 0x7fff
	v_and_b32_e32 v17, 0xffff0000, v17
	s_delay_alu instid0(VALU_DEP_1) | instskip(SKIP_3) | instid1(VALU_DEP_3)
	v_max_num_f32_e64 v17, |v17|, |v17|
	v_cndmask_b32_e32 v13, 0x7fc00000, v20, vcc_lo
	v_add3_u32 v20, v14, v23, 0x7fff
	v_cmp_o_f32_e32 vcc_lo, v14, v14
	v_dual_max_num_f32 v16, v16, v17 :: v_dual_mul_f32 v13, v13, v22
	s_delay_alu instid0(VALU_DEP_3) | instskip(SKIP_1) | instid1(VALU_DEP_3)
	v_and_b32_e32 v20, 0xffff0000, v20
	v_mul_f32_e32 v15, v1, v15
	v_bfe_u32 v21, v13, 16, 1
	s_delay_alu instid0(VALU_DEP_3) | instskip(NEXT) | instid1(VALU_DEP_3)
	v_cndmask_b32_e32 v14, 0x7fc00000, v20, vcc_lo
	v_bfe_u32 v22, v15, 16, 1
	v_cmp_u_f32_e32 vcc_lo, v12, v12
	v_and_b32_e32 v12, 0xffff0000, v19
	v_add3_u32 v20, v13, v21, 0x7fff
	v_mul_f32_e32 v14, v14, v18
	v_add3_u32 v17, v15, v22, 0x7fff
	v_cndmask_b32_e32 v9, v16, v9, vcc_lo
	v_cmp_o_f32_e32 vcc_lo, v15, v15
	v_and_b32_e32 v18, 0xffff0000, v20
	s_delay_alu instid0(VALU_DEP_4) | instskip(SKIP_1) | instid1(VALU_DEP_3)
	v_and_b32_e32 v16, 0xffff0000, v17
	v_bfe_u32 v17, v14, 16, 1
	v_max_num_f32_e64 v18, |v18|, |v18|
	s_delay_alu instid0(VALU_DEP_3) | instskip(NEXT) | instid1(VALU_DEP_3)
	v_cndmask_b32_e32 v15, 0x7fc00000, v16, vcc_lo
	v_add3_u32 v16, v14, v17, 0x7fff
	v_max_num_f32_e32 v19, v9, v9
	v_cmp_u_f32_e32 vcc_lo, v13, v13
	s_delay_alu instid0(VALU_DEP_4) | instskip(NEXT) | instid1(VALU_DEP_4)
	v_mul_f32_e32 v15, v15, v12
	v_and_b32_e32 v12, 0xffff0000, v16
	s_delay_alu instid0(VALU_DEP_2) | instskip(NEXT) | instid1(VALU_DEP_2)
	v_bfe_u32 v13, v15, 16, 1
	v_max_num_f32_e64 v12, |v12|, |v12|
	v_max_num_f32_e32 v17, v19, v18
	s_delay_alu instid0(VALU_DEP_3) | instskip(NEXT) | instid1(VALU_DEP_2)
	v_add3_u32 v13, v15, v13, 0x7fff
	v_cndmask_b32_e32 v9, v17, v9, vcc_lo
	v_cmp_u_f32_e32 vcc_lo, v14, v14
	s_delay_alu instid0(VALU_DEP_3) | instskip(NEXT) | instid1(VALU_DEP_3)
	v_and_b32_e32 v13, 0xffff0000, v13
	v_max_num_f32_e32 v16, v9, v9
	s_delay_alu instid0(VALU_DEP_1) | instskip(NEXT) | instid1(VALU_DEP_1)
	v_max_num_f32_e32 v12, v16, v12
	v_cndmask_b32_e32 v9, v12, v9, vcc_lo
	s_delay_alu instid0(VALU_DEP_4) | instskip(SKIP_1) | instid1(VALU_DEP_3)
	v_max_num_f32_e64 v12, |v13|, |v13|
	v_cmp_u_f32_e32 vcc_lo, v15, v15
	v_max_num_f32_e32 v13, v9, v9
	s_delay_alu instid0(VALU_DEP_1) | instskip(NEXT) | instid1(VALU_DEP_1)
	v_dual_max_num_f32 v13, v13, v12 :: v_dual_add_nc_u32 v12, s33, v10
                                        ; implicit-def: $vgpr10
	v_cndmask_b32_e32 v9, v13, v9, vcc_lo
	s_delay_alu instid0(VALU_DEP_2)
	v_cmpx_gt_u32_e64 s11, v12
	s_xor_b32 s38, exec_lo, s38
	s_cbranch_execz .LBB14_46
; %bb.52:                               ;   in Loop: Header=BB14_49 Depth=1
	s_clause 0x2
	global_load_b64 v[14:15], v12, s[12:13] scale_offset
	global_load_b64 v[16:17], v12, s[14:15] scale_offset
	;; [unrolled: 1-line block ×3, first 2 shown]
	s_wait_loadcnt 0x1
	s_wait_xcnt 0x0
	v_dual_lshlrev_b32 v10, 16, v14 :: v_dual_lshlrev_b32 v12, 16, v16
	v_and_b32_e32 v13, 0xffff0000, v16
	v_alignbit_b32 v16, v17, v16, 16
	s_delay_alu instid0(VALU_DEP_3) | instskip(SKIP_1) | instid1(VALU_DEP_3)
	v_add_f32_e32 v10, v10, v12
	v_and_b32_e32 v12, 0xffff0000, v14
	v_and_b32_e32 v16, 0xffff0000, v16
	s_delay_alu instid0(VALU_DEP_2) | instskip(SKIP_2) | instid1(VALU_DEP_3)
	v_dual_add_f32 v12, v12, v13 :: v_dual_mul_f32 v10, v1, v10
	v_alignbit_b32 v13, v15, v14, 16
	v_and_b32_e32 v15, 0xffff0000, v15
	v_mul_f32_e32 v12, v1, v12
	s_delay_alu instid0(VALU_DEP_4) | instskip(NEXT) | instid1(VALU_DEP_4)
	v_bfe_u32 v20, v10, 16, 1
	v_and_b32_e32 v13, 0xffff0000, v13
	v_cmp_o_f32_e32 vcc_lo, v10, v10
	s_delay_alu instid0(VALU_DEP_4) | instskip(NEXT) | instid1(VALU_DEP_4)
	v_bfe_u32 v21, v12, 16, 1
	v_add3_u32 v14, v10, v20, 0x7fff
	s_wait_loadcnt 0x0
	v_dual_add_f32 v13, v13, v16 :: v_dual_lshlrev_b32 v20, 16, v18
	s_delay_alu instid0(VALU_DEP_2) | instskip(NEXT) | instid1(VALU_DEP_1)
	v_and_b32_e32 v14, 0xffff0000, v14
	v_dual_mul_f32 v13, v1, v13 :: v_dual_cndmask_b32 v10, 0x7fc00000, v14
	v_add3_u32 v14, v12, v21, 0x7fff
	v_max_num_f32_e32 v16, v9, v9
	s_delay_alu instid0(VALU_DEP_3)
	v_bfe_u32 v22, v13, 16, 1
	v_cmp_o_f32_e32 vcc_lo, v12, v12
	v_mul_f32_e32 v10, v10, v20
	v_and_b32_e32 v14, 0xffff0000, v14
	v_and_b32_e32 v20, 0xffff0000, v18
	v_alignbit_b32 v18, v19, v18, 16
	s_delay_alu instid0(VALU_DEP_4) | instskip(NEXT) | instid1(VALU_DEP_4)
	v_bfe_u32 v21, v10, 16, 1
	v_cndmask_b32_e32 v12, 0x7fc00000, v14, vcc_lo
	v_and_b32_e32 v14, 0xffff0000, v17
	v_cmp_o_f32_e32 vcc_lo, v13, v13
	s_delay_alu instid0(VALU_DEP_4) | instskip(SKIP_1) | instid1(VALU_DEP_4)
	v_add3_u32 v17, v10, v21, 0x7fff
	v_add3_u32 v21, v13, v22, 0x7fff
	v_add_f32_e32 v14, v15, v14
	s_delay_alu instid0(VALU_DEP_3) | instskip(SKIP_1) | instid1(VALU_DEP_4)
	v_and_b32_e32 v15, 0xffff0000, v17
	v_and_b32_e32 v17, 0xffff0000, v18
	;; [unrolled: 1-line block ×3, first 2 shown]
	s_delay_alu instid0(VALU_DEP_3) | instskip(NEXT) | instid1(VALU_DEP_2)
	v_max_num_f32_e64 v15, |v15|, |v15|
	v_cndmask_b32_e32 v13, 0x7fc00000, v18, vcc_lo
	v_cmp_u_f32_e32 vcc_lo, v10, v10
	s_delay_alu instid0(VALU_DEP_2) | instskip(SKIP_1) | instid1(VALU_DEP_1)
	v_dual_max_num_f32 v15, v16, v15 :: v_dual_mul_f32 v13, v13, v17
	v_dual_mul_f32 v12, v12, v20 :: v_dual_mul_f32 v14, v1, v14
	v_bfe_u32 v20, v12, 16, 1
	s_delay_alu instid0(VALU_DEP_2) | instskip(NEXT) | instid1(VALU_DEP_2)
	v_bfe_u32 v16, v14, 16, 1
	v_add3_u32 v18, v12, v20, 0x7fff
	s_delay_alu instid0(VALU_DEP_2) | instskip(NEXT) | instid1(VALU_DEP_2)
	v_add3_u32 v10, v14, v16, 0x7fff
	v_and_b32_e32 v17, 0xffff0000, v18
	s_delay_alu instid0(VALU_DEP_2)
	v_and_b32_e32 v10, 0xffff0000, v10
	v_and_b32_e32 v18, 0xffff0000, v19
	v_cndmask_b32_e32 v9, v15, v9, vcc_lo
	v_cmp_o_f32_e32 vcc_lo, v14, v14
	v_bfe_u32 v15, v13, 16, 1
	v_max_num_f32_e64 v16, |v17|, |v17|
	v_cndmask_b32_e32 v10, 0x7fc00000, v10, vcc_lo
	v_cmp_u_f32_e32 vcc_lo, v12, v12
	s_delay_alu instid0(VALU_DEP_4) | instskip(NEXT) | instid1(VALU_DEP_3)
	v_add3_u32 v15, v13, v15, 0x7fff
	v_dual_mul_f32 v12, v10, v18 :: v_dual_max_num_f32 v17, v9, v9
	s_delay_alu instid0(VALU_DEP_2) | instskip(NEXT) | instid1(VALU_DEP_2)
	v_and_b32_e32 v14, 0xffff0000, v15
	v_bfe_u32 v15, v12, 16, 1
	s_delay_alu instid0(VALU_DEP_3) | instskip(NEXT) | instid1(VALU_DEP_3)
	v_max_num_f32_e32 v16, v17, v16
	v_max_num_f32_e64 v10, |v14|, |v14|
	v_cmp_u_f32_e64 s10, v12, v12
	s_delay_alu instid0(VALU_DEP_3) | instskip(SKIP_1) | instid1(VALU_DEP_2)
	v_cndmask_b32_e32 v9, v16, v9, vcc_lo
	v_cmp_u_f32_e32 vcc_lo, v13, v13
	v_max_num_f32_e32 v14, v9, v9
	s_delay_alu instid0(VALU_DEP_1) | instskip(SKIP_1) | instid1(VALU_DEP_2)
	v_max_num_f32_e32 v10, v14, v10
	v_add3_u32 v14, v12, v15, 0x7fff
	v_cndmask_b32_e32 v9, v10, v9, vcc_lo
	s_delay_alu instid0(VALU_DEP_2) | instskip(NEXT) | instid1(VALU_DEP_2)
	v_and_b32_e32 v10, 0xffff0000, v14
	v_max_num_f32_e32 v13, v9, v9
	s_delay_alu instid0(VALU_DEP_2) | instskip(SKIP_1) | instid1(VALU_DEP_2)
	v_max_num_f32_e64 v14, |v10|, |v10|
	v_add3_u32 v10, s34, s20, v11
	v_max_num_f32_e32 v11, v13, v14
	s_delay_alu instid0(VALU_DEP_2) | instskip(NEXT) | instid1(VALU_DEP_2)
	v_cmp_le_u32_e32 vcc_lo, s11, v10
	v_cndmask_b32_e64 v9, v11, v9, s10
	s_or_not1_b32 s10, vcc_lo, exec_lo
	s_branch .LBB14_46
.LBB14_53:
	s_or_b32 exec_lo, exec_lo, s27
.LBB14_54:
	s_delay_alu instid0(SALU_CYCLE_1)
	s_or_b32 exec_lo, exec_lo, s21
	ds_bpermute_b32 v4, v4, v9
	v_or_b32_e32 v10, 0x80, v3
	s_wait_dscnt 0x0
	v_cmp_lt_f32_e32 vcc_lo, v9, v4
	v_cndmask_b32_e32 v4, v9, v4, vcc_lo
	s_delay_alu instid0(VALU_DEP_1) | instskip(SKIP_1) | instid1(SALU_CYCLE_1)
	v_cndmask_b32_e64 v4, v9, v4, s1
	s_or_b32 s1, s1, s2
	s_or_b32 s1, s3, s1
	s_delay_alu instid0(SALU_CYCLE_1)
	s_or_b32 s1, s4, s1
	ds_bpermute_b32 v5, v5, v4
	s_or_b32 s1, s5, s1
	s_wait_dscnt 0x0
	v_cmp_lt_f32_e32 vcc_lo, v4, v5
	v_cndmask_b32_e32 v5, v4, v5, vcc_lo
	s_delay_alu instid0(VALU_DEP_1) | instskip(SKIP_4) | instid1(VALU_DEP_1)
	v_cndmask_b32_e64 v4, v4, v5, s2
	ds_bpermute_b32 v5, v6, v4
	s_wait_dscnt 0x0
	v_cmp_lt_f32_e32 vcc_lo, v4, v5
	v_cndmask_b32_e32 v5, v4, v5, vcc_lo
	v_cndmask_b32_e64 v4, v4, v5, s3
	ds_bpermute_b32 v5, v7, v4
	s_wait_dscnt 0x0
	v_cmp_lt_f32_e32 vcc_lo, v4, v5
	v_cndmask_b32_e32 v5, v4, v5, vcc_lo
	s_delay_alu instid0(VALU_DEP_1) | instskip(SKIP_4) | instid1(VALU_DEP_1)
	v_cndmask_b32_e64 v4, v4, v5, s4
	ds_bpermute_b32 v5, v8, v4
	s_wait_dscnt 0x0
	v_cmp_lt_f32_e32 vcc_lo, v4, v5
	v_cndmask_b32_e32 v5, v4, v5, vcc_lo
	v_cndmask_b32_e64 v4, v4, v5, s5
	ds_bpermute_b32 v5, v10, v4
	s_wait_dscnt 0x0
	v_cmp_lt_f32_e32 vcc_lo, v4, v5
	s_and_b32 vcc_lo, s8, vcc_lo
	v_cndmask_b32_e32 v4, v4, v5, vcc_lo
	s_or_b32 vcc_lo, s8, s1
	s_delay_alu instid0(VALU_DEP_1)
	v_cndmask_b32_e32 v4, v9, v4, vcc_lo
	s_and_saveexec_b32 s1, s6
; %bb.55:
	v_lshrrev_b32_e32 v5, 4, v0
	s_delay_alu instid0(VALU_DEP_1)
	v_and_b32_e32 v5, 60, v5
	ds_store_b32 v5, v4 offset:64
; %bb.56:
	s_or_b32 exec_lo, exec_lo, s1
	s_wait_dscnt 0x0
	s_barrier_signal -1
	s_barrier_wait -1
	s_and_saveexec_b32 s3, s7
	s_cbranch_execz .LBB14_58
; %bb.57:
	ds_load_b32 v4, v3 offset:64
	v_and_b32_e32 v5, 15, v2
	s_add_co_i32 s1, s20, 63
	v_or_b32_e32 v3, 32, v3
	s_lshr_b32 s2, s1, 6
	s_delay_alu instid0(VALU_DEP_2) | instskip(SKIP_4) | instid1(VALU_DEP_3)
	v_cmp_ne_u32_e32 vcc_lo, 15, v5
	v_add_nc_u32_e32 v7, 1, v5
	v_cmp_gt_u32_e64 s1, 12, v5
	v_add_co_ci_u32_e64 v6, null, 0, v2, vcc_lo
	v_cmp_gt_u32_e32 vcc_lo, 14, v5
	v_cndmask_b32_e64 v9, 0, 4, s1
	s_delay_alu instid0(VALU_DEP_3)
	v_lshlrev_b32_e32 v6, 2, v6
	v_cndmask_b32_e64 v8, 0, 2, vcc_lo
	s_wait_dscnt 0x0
	ds_bpermute_b32 v6, v6, v4
	v_add_lshl_u32 v8, v8, v2, 2
	v_add_lshl_u32 v2, v9, v2, 2
	s_wait_dscnt 0x0
	v_cmp_lt_f32_e32 vcc_lo, v4, v6
	v_cndmask_b32_e32 v6, v4, v6, vcc_lo
	v_cmp_gt_u32_e32 vcc_lo, s2, v7
	s_delay_alu instid0(VALU_DEP_2) | instskip(SKIP_3) | instid1(VALU_DEP_1)
	v_cndmask_b32_e32 v6, v4, v6, vcc_lo
	ds_bpermute_b32 v7, v8, v6
	s_wait_dscnt 0x0
	v_cmp_lt_f32_e64 s1, v6, v7
	v_dual_cndmask_b32 v7, v6, v7, s1 :: v_dual_add_nc_u32 v8, 2, v5
	s_delay_alu instid0(VALU_DEP_1) | instskip(NEXT) | instid1(VALU_DEP_1)
	v_cmp_gt_u32_e64 s1, s2, v8
	v_dual_cndmask_b32 v6, v6, v7, s1 :: v_dual_add_nc_u32 v7, 4, v5
	v_add_nc_u32_e32 v5, 8, v5
	ds_bpermute_b32 v2, v2, v6
	s_wait_dscnt 0x0
	v_cmp_lt_f32_e64 s1, v6, v2
	s_delay_alu instid0(VALU_DEP_1) | instskip(SKIP_1) | instid1(VALU_DEP_1)
	v_cndmask_b32_e64 v2, v6, v2, s1
	v_cmp_gt_u32_e64 s1, s2, v7
	v_cndmask_b32_e64 v2, v6, v2, s1
	v_cmp_gt_u32_e64 s1, s2, v5
	ds_bpermute_b32 v3, v3, v2
	s_wait_dscnt 0x0
	v_cmp_lt_f32_e64 s2, v2, v3
	s_and_b32 s1, s1, s2
	s_delay_alu instid0(SALU_CYCLE_1) | instskip(NEXT) | instid1(VALU_DEP_1)
	v_cndmask_b32_e64 v2, v2, v3, s1
	v_cndmask_b32_e32 v4, v4, v2, vcc_lo
.LBB14_58:
	s_or_b32 exec_lo, exec_lo, s3
	s_and_saveexec_b32 s1, s9
	s_cbranch_execz .LBB14_62
; %bb.59:
	s_cmp_eq_u64 s[24:25], 0
	s_cbranch_scc1 .LBB14_61
; %bb.60:
	v_dual_mov_b32 v2, 0 :: v_dual_max_num_f32 v3, v4, v4
	global_load_b32 v2, v2, s[24:25]
	s_wait_loadcnt 0x0
	v_max_num_f32_e32 v2, v2, v2
	s_delay_alu instid0(VALU_DEP_1)
	v_min_num_f32_e32 v4, v3, v2
.LBB14_61:
	s_delay_alu instid0(VALU_DEP_1)
	v_div_scale_f32 v2, null, 0x42fe0000, 0x42fe0000, v4
	v_div_scale_f32 v6, vcc_lo, v4, 0x42fe0000, v4
	s_lshl_b64 s[2:3], s[30:31], 2
	v_rcp_f32_e32 v3, v2
	s_add_nc_u64 s[2:3], s[18:19], s[2:3]
	v_nop
	s_delay_alu instid0(TRANS32_DEP_1) | instskip(NEXT) | instid1(VALU_DEP_1)
	v_fma_f32 v5, -v2, v3, 1.0
	v_fmac_f32_e32 v3, v5, v3
	s_delay_alu instid0(VALU_DEP_1) | instskip(NEXT) | instid1(VALU_DEP_1)
	v_mul_f32_e32 v5, v6, v3
	v_fma_f32 v7, -v2, v5, v6
	s_delay_alu instid0(VALU_DEP_1) | instskip(NEXT) | instid1(VALU_DEP_1)
	v_fmac_f32_e32 v5, v7, v3
	v_fma_f32 v2, -v2, v5, v6
	s_delay_alu instid0(VALU_DEP_1) | instskip(SKIP_1) | instid1(VALU_DEP_2)
	v_div_fmas_f32 v2, v2, v3, v5
	v_mov_b32_e32 v3, 0
	v_div_fixup_f32 v2, v2, 0x42fe0000, v4
	s_delay_alu instid0(VALU_DEP_1)
	v_max_num_f32_e32 v2, 0x34000000, v2
	ds_store_b32 v3, v2 offset:260
	global_store_b32 v3, v2, s[2:3]
.LBB14_62:
	s_wait_xcnt 0x0
	s_or_b32 exec_lo, exec_lo, s1
	s_wait_storecnt_dscnt 0x0
	s_barrier_signal -1
	s_barrier_wait -1
	s_and_saveexec_b32 s1, s0
	s_cbranch_execz .LBB14_71
; %bb.63:
	v_mov_b32_e32 v2, 0
	s_add_nc_u64 s[0:1], s[16:17], s[28:29]
	s_lshl_b32 s2, s20, 1
	s_mul_i32 s3, s20, 3
	s_mov_b32 s4, 0
	ds_load_b32 v2, v2 offset:260
	s_add_co_i32 s5, s20, s20
                                        ; implicit-def: $sgpr6
	s_wait_dscnt 0x0
	v_div_scale_f32 v3, null, v2, v2, 1.0
	v_div_scale_f32 v6, vcc_lo, 1.0, v2, 1.0
	s_delay_alu instid0(VALU_DEP_2)
	v_rcp_f32_e32 v4, v3
	v_nop
	v_xor_b32_e32 v3, 0x80000000, v3
	s_delay_alu instid0(TRANS32_DEP_1) | instid1(VALU_DEP_1)
	v_fma_f32 v5, v3, v4, 1.0
	s_delay_alu instid0(VALU_DEP_1) | instskip(NEXT) | instid1(VALU_DEP_1)
	v_fmac_f32_e32 v4, v5, v4
	v_mul_f32_e32 v5, v6, v4
	s_delay_alu instid0(VALU_DEP_1) | instskip(NEXT) | instid1(VALU_DEP_1)
	v_fma_f32 v7, v3, v5, v6
	v_fmac_f32_e32 v5, v7, v4
	s_delay_alu instid0(VALU_DEP_1) | instskip(NEXT) | instid1(VALU_DEP_1)
	v_fmac_f32_e32 v6, v3, v5
	v_div_fmas_f32 v3, v6, v4, v5
	s_delay_alu instid0(VALU_DEP_1)
	v_div_fixup_f32 v8, v3, v2, 1.0
	s_branch .LBB14_67
.LBB14_64:                              ;   in Loop: Header=BB14_67 Depth=1
	s_wait_xcnt 0x0
	s_or_b32 exec_lo, exec_lo, s9
	s_delay_alu instid0(SALU_CYCLE_1)
	s_or_not1_b32 s9, s10, exec_lo
.LBB14_65:                              ;   in Loop: Header=BB14_67 Depth=1
	s_or_b32 exec_lo, exec_lo, s8
	s_delay_alu instid0(SALU_CYCLE_1) | instskip(SKIP_1) | instid1(SALU_CYCLE_1)
	s_and_not1_b32 s6, s6, exec_lo
	s_and_b32 s8, s9, exec_lo
	s_or_b32 s6, s6, s8
.LBB14_66:                              ;   in Loop: Header=BB14_67 Depth=1
	s_or_b32 exec_lo, exec_lo, s7
	s_delay_alu instid0(SALU_CYCLE_1) | instskip(NEXT) | instid1(SALU_CYCLE_1)
	s_and_b32 s7, exec_lo, s6
	s_or_b32 s4, s7, s4
	s_delay_alu instid0(SALU_CYCLE_1)
	s_and_not1_b32 exec_lo, exec_lo, s4
	s_cbranch_execz .LBB14_71
.LBB14_67:                              ; =>This Inner Loop Header: Depth=1
	s_clause 0x2
	global_load_b64 v[2:3], v0, s[12:13] scale_offset
	global_load_b64 v[4:5], v0, s[22:23] scale_offset
	;; [unrolled: 1-line block ×3, first 2 shown]
	s_or_b32 s6, s6, exec_lo
	s_mov_b32 s7, exec_lo
	s_wait_loadcnt 0x2
	v_and_b32_e32 v9, 0xffff0000, v2
	s_wait_loadcnt 0x1
	v_dual_lshlrev_b32 v11, 16, v2 :: v_dual_lshlrev_b32 v14, 16, v4
	v_alignbit_b32 v2, v3, v2, 16
	s_wait_loadcnt 0x0
	v_and_b32_e32 v12, 0xffff0000, v6
	v_lshlrev_b32_e32 v13, 16, v6
	v_alignbit_b32 v6, v7, v6, 16
	v_and_b32_e32 v3, 0xffff0000, v3
	v_and_b32_e32 v2, 0xffff0000, v2
	v_add_f32_e32 v9, v9, v12
	v_and_b32_e32 v7, 0xffff0000, v7
	v_and_b32_e32 v6, 0xffff0000, v6
	v_add_f32_e32 v11, v11, v13
	v_and_b32_e32 v10, 0xffff0000, v4
	s_delay_alu instid0(VALU_DEP_4) | instskip(NEXT) | instid1(VALU_DEP_3)
	v_dual_mul_f32 v15, v1, v9 :: v_dual_add_f32 v3, v3, v7
	v_dual_add_f32 v2, v2, v6 :: v_dual_mul_f32 v13, v1, v11
	v_bfe_u32 v6, v11, 16, 1
	s_delay_alu instid0(VALU_DEP_3) | instskip(SKIP_1) | instid1(VALU_DEP_4)
	v_bfe_u32 v20, v15, 16, 1
	v_alignbit_b32 v4, v5, v4, 16
	v_mul_f32_e32 v17, v1, v2
	v_bfe_u32 v19, v13, 16, 1
	v_add3_u32 v6, v11, v6, 0x7fff
	v_mul_f32_e32 v16, v1, v3
	v_add3_u32 v20, v15, v20, 0x7fff
	v_bfe_u32 v22, v17, 16, 1
	v_add3_u32 v19, v13, v19, 0x7fff
	v_cmp_o_f32_e32 vcc_lo, v13, v13
	v_lshrrev_b32_e32 v6, 16, v6
	v_bfe_u32 v21, v16, 16, 1
	v_add3_u32 v22, v17, v22, 0x7fff
	v_and_b32_e32 v19, 0xffff0000, v19
	v_and_b32_e32 v20, 0xffff0000, v20
	;; [unrolled: 1-line block ×3, first 2 shown]
	v_add3_u32 v21, v16, v21, 0x7fff
	v_and_b32_e32 v22, 0xffff0000, v22
	v_cndmask_b32_e32 v13, 0x7fc00000, v19, vcc_lo
	v_cmp_o_f32_e32 vcc_lo, v15, v15
	v_and_b32_e32 v5, 0xffff0000, v5
	v_and_b32_e32 v21, 0xffff0000, v21
	v_bfe_u32 v18, v2, 16, 1
	v_bfe_u32 v12, v3, 16, 1
	v_cndmask_b32_e32 v15, 0x7fc00000, v20, vcc_lo
	v_cmp_o_f32_e32 vcc_lo, v17, v17
	v_bfe_u32 v7, v9, 16, 1
	s_delay_alu instid0(VALU_DEP_4) | instskip(NEXT) | instid1(VALU_DEP_4)
	v_add3_u32 v12, v3, v12, 0x7fff
	v_mul_f32_e32 v10, v15, v10
	v_cndmask_b32_e32 v17, 0x7fc00000, v22, vcc_lo
	v_cmp_o_f32_e32 vcc_lo, v16, v16
	v_mul_f32_e32 v13, v13, v14
	v_add3_u32 v14, v2, v18, 0x7fff
	v_add3_u32 v7, v9, v7, 0x7fff
	v_and_b32_e32 v12, 0xffff0000, v12
	v_cndmask_b32_e32 v16, 0x7fc00000, v21, vcc_lo
	v_mul_f32_e32 v4, v17, v4
	v_bfe_u32 v15, v13, 16, 1
	v_cmp_o_f32_e32 vcc_lo, v13, v13
	v_and_b32_e32 v7, 0xffff0000, v7
	v_mul_f32_e32 v5, v16, v5
	v_bfe_u32 v17, v4, 16, 1
	v_add3_u32 v15, v13, v15, 0x7fff
	v_bfe_u32 v16, v10, 16, 1
	v_lshrrev_b32_e32 v14, 16, v14
	v_bfe_u32 v18, v5, 16, 1
	v_add3_u32 v17, v4, v17, 0x7fff
	v_and_b32_e32 v15, 0xffff0000, v15
	v_add3_u32 v16, v10, v16, 0x7fff
	s_delay_alu instid0(VALU_DEP_4) | instskip(NEXT) | instid1(VALU_DEP_4)
	v_add3_u32 v18, v5, v18, 0x7fff
	v_and_b32_e32 v17, 0xffff0000, v17
	s_delay_alu instid0(VALU_DEP_4)
	v_cndmask_b32_e32 v13, 0x7fc00000, v15, vcc_lo
	v_cmp_o_f32_e32 vcc_lo, v4, v4
	v_and_b32_e32 v16, 0xffff0000, v16
	v_and_b32_e32 v18, 0xffff0000, v18
	v_cndmask_b32_e32 v4, 0x7fc00000, v17, vcc_lo
	v_cmp_o_f32_e32 vcc_lo, v10, v10
	s_delay_alu instid0(VALU_DEP_2) | instskip(SKIP_2) | instid1(VALU_DEP_3)
	v_mul_f32_e32 v4, v8, v4
	v_cndmask_b32_e32 v10, 0x7fc00000, v16, vcc_lo
	v_cmp_o_f32_e32 vcc_lo, v5, v5
	v_rndne_f32_e32 v4, v4
	v_cndmask_b32_e32 v5, 0x7fc00000, v18, vcc_lo
	v_cmp_o_f32_e32 vcc_lo, v3, v3
	s_delay_alu instid0(VALU_DEP_2) | instskip(SKIP_3) | instid1(VALU_DEP_4)
	v_mul_f32_e32 v5, v8, v5
	v_dual_cndmask_b32 v3, 0x7fc00000, v12 :: v_dual_mul_f32 v10, v8, v10
	v_mul_f32_e32 v12, v8, v13
	v_cmp_o_f32_e32 vcc_lo, v9, v9
	v_rndne_f32_e32 v5, v5
	s_delay_alu instid0(VALU_DEP_4) | instskip(NEXT) | instid1(VALU_DEP_4)
	v_rndne_f32_e32 v10, v10
	v_rndne_f32_e32 v9, v12
	v_cndmask_b32_e32 v7, 0x7fc00000, v7, vcc_lo
	v_cmp_nlt_f32_e32 vcc_lo, 0x42fe0000, v4
	v_cndmask_b32_e32 v12, 0x42fe0000, v4, vcc_lo
	s_delay_alu instid0(VALU_DEP_4)
	v_cmp_nlt_f32_e32 vcc_lo, 0x42fe0000, v9
	v_cndmask_b32_e32 v13, 0x42fe0000, v9, vcc_lo
	v_cmp_nlt_f32_e32 vcc_lo, 0x42fe0000, v10
	v_cndmask_b32_e32 v15, 0x42fe0000, v10, vcc_lo
	v_cmp_ngt_f32_e32 vcc_lo, 0xc3000000, v4
	v_cndmask_b32_e32 v4, 0xc3000000, v12, vcc_lo
	v_cmp_nlt_f32_e32 vcc_lo, 0x42fe0000, v5
	s_delay_alu instid0(VALU_DEP_2) | instskip(SKIP_2) | instid1(VALU_DEP_3)
	v_cvt_i32_f32_e32 v4, v4
	v_cndmask_b32_e32 v12, 0x42fe0000, v5, vcc_lo
	v_cmp_ngt_f32_e32 vcc_lo, 0xc3000000, v10
	v_and_b32_e32 v4, 0xff, v4
	v_cndmask_b32_e32 v10, 0xc3000000, v15, vcc_lo
	v_cmp_ngt_f32_e32 vcc_lo, 0xc3000000, v9
	s_delay_alu instid0(VALU_DEP_3) | instskip(NEXT) | instid1(VALU_DEP_3)
	v_lshlrev_b32_e32 v4, 16, v4
	v_cvt_i32_f32_e32 v10, v10
	v_cndmask_b32_e32 v9, 0xc3000000, v13, vcc_lo
	v_cmp_ngt_f32_e32 vcc_lo, 0xc3000000, v5
	s_delay_alu instid0(VALU_DEP_3) | instskip(NEXT) | instid1(VALU_DEP_3)
	v_and_b32_e32 v10, 0xff, v10
	v_cvt_i32_f32_e32 v9, v9
	v_cndmask_b32_e32 v5, 0xc3000000, v12, vcc_lo
	v_cmp_o_f32_e32 vcc_lo, v11, v11
	s_delay_alu instid0(VALU_DEP_2) | instskip(SKIP_2) | instid1(VALU_DEP_3)
	v_cvt_i32_f32_e32 v5, v5
	v_cndmask_b32_e32 v6, 0x7fc0, v6, vcc_lo
	v_cmp_o_f32_e32 vcc_lo, v2, v2
	v_lshl_or_b32 v4, v5, 24, v4
	s_delay_alu instid0(VALU_DEP_3) | instskip(SKIP_4) | instid1(VALU_DEP_4)
	v_or_b32_e32 v6, v6, v7
	v_cndmask_b32_e32 v2, 0x7fc0, v14, vcc_lo
	v_lshlrev_b32_e32 v7, 8, v10
	v_and_b32_e32 v5, 0xff, v9
	v_add_nc_u32_e32 v9, s20, v0
	v_or3_b32 v3, 0, v2, v3
	v_or3_b32 v2, v6, 0, 0
	s_delay_alu instid0(VALU_DEP_4)
	v_or3_b32 v4, v4, v7, v5
	s_clause 0x1
	global_store_b64 v0, v[2:3], s[14:15] scale_offset
	global_store_b32 v0, v4, s[0:1] scale_offset
	s_wait_xcnt 0x0
	v_cmpx_gt_u32_e64 s11, v9
	s_cbranch_execz .LBB14_66
; %bb.68:                               ;   in Loop: Header=BB14_67 Depth=1
	s_clause 0x2
	global_load_b64 v[2:3], v9, s[12:13] scale_offset
	global_load_b64 v[4:5], v9, s[22:23] scale_offset
	;; [unrolled: 1-line block ×3, first 2 shown]
	s_mov_b32 s9, -1
	s_mov_b32 s8, exec_lo
	s_wait_loadcnt 0x2
	v_and_b32_e32 v10, 0xffff0000, v2
	s_wait_loadcnt 0x1
	v_dual_lshlrev_b32 v12, 16, v2 :: v_dual_lshlrev_b32 v15, 16, v4
	v_alignbit_b32 v2, v3, v2, 16
	s_wait_loadcnt 0x0
	v_and_b32_e32 v13, 0xffff0000, v6
	v_lshlrev_b32_e32 v14, 16, v6
	v_alignbit_b32 v6, v7, v6, 16
	v_and_b32_e32 v3, 0xffff0000, v3
	v_and_b32_e32 v7, 0xffff0000, v7
	;; [unrolled: 1-line block ×3, first 2 shown]
	v_add_f32_e32 v10, v10, v13
	v_and_b32_e32 v6, 0xffff0000, v6
	s_delay_alu instid0(VALU_DEP_4) | instskip(SKIP_1) | instid1(VALU_DEP_4)
	v_dual_add_f32 v12, v12, v14 :: v_dual_add_f32 v3, v3, v7
	v_and_b32_e32 v11, 0xffff0000, v4
	v_mul_f32_e32 v16, v1, v10
	s_delay_alu instid0(VALU_DEP_3)
	v_dual_add_f32 v2, v2, v6 :: v_dual_mul_f32 v14, v1, v12
	v_alignbit_b32 v4, v5, v4, 16
	v_and_b32_e32 v5, 0xffff0000, v5
	v_mul_f32_e32 v17, v1, v3
	v_bfe_u32 v21, v16, 16, 1
	v_bfe_u32 v20, v14, 16, 1
	v_cmp_o_f32_e32 vcc_lo, v14, v14
	v_bfe_u32 v19, v2, 16, 1
	v_bfe_u32 v22, v17, 16, 1
	v_add3_u32 v21, v16, v21, 0x7fff
	v_add3_u32 v20, v14, v20, 0x7fff
	v_bfe_u32 v6, v12, 16, 1
	v_and_b32_e32 v4, 0xffff0000, v4
	v_add3_u32 v22, v17, v22, 0x7fff
	v_and_b32_e32 v21, 0xffff0000, v21
	v_and_b32_e32 v20, 0xffff0000, v20
	v_add3_u32 v6, v12, v6, 0x7fff
	v_bfe_u32 v13, v3, 16, 1
	v_and_b32_e32 v22, 0xffff0000, v22
	v_bfe_u32 v7, v10, 16, 1
	v_cndmask_b32_e32 v14, 0x7fc00000, v20, vcc_lo
	v_mul_f32_e32 v18, v1, v2
	v_cmp_o_f32_e32 vcc_lo, v16, v16
	v_add3_u32 v13, v3, v13, 0x7fff
	v_add3_u32 v7, v10, v7, 0x7fff
	v_mul_f32_e32 v14, v14, v15
	v_bfe_u32 v23, v18, 16, 1
	v_add3_u32 v15, v2, v19, 0x7fff
	v_cndmask_b32_e32 v16, 0x7fc00000, v21, vcc_lo
	v_cmp_o_f32_e32 vcc_lo, v18, v18
	v_and_b32_e32 v13, 0xffff0000, v13
	v_add3_u32 v23, v18, v23, 0x7fff
	v_dual_lshrrev_b32 v15, 16, v15 :: v_dual_lshrrev_b32 v6, 16, v6
	v_mul_f32_e32 v11, v16, v11
	v_bfe_u32 v16, v14, 16, 1
	s_delay_alu instid0(VALU_DEP_4) | instskip(SKIP_1) | instid1(VALU_DEP_3)
	v_and_b32_e32 v23, 0xffff0000, v23
	v_and_b32_e32 v7, 0xffff0000, v7
	v_add3_u32 v16, v14, v16, 0x7fff
	s_delay_alu instid0(VALU_DEP_3) | instskip(SKIP_1) | instid1(VALU_DEP_3)
	v_cndmask_b32_e32 v18, 0x7fc00000, v23, vcc_lo
	v_cmp_o_f32_e32 vcc_lo, v17, v17
	v_and_b32_e32 v16, 0xffff0000, v16
	s_delay_alu instid0(VALU_DEP_3) | instskip(SKIP_1) | instid1(VALU_DEP_2)
	v_dual_mul_f32 v4, v18, v4 :: v_dual_cndmask_b32 v17, 0x7fc00000, v22
	v_cmp_o_f32_e32 vcc_lo, v14, v14
	v_bfe_u32 v18, v4, 16, 1
	s_delay_alu instid0(VALU_DEP_3)
	v_mul_f32_e32 v5, v17, v5
	v_bfe_u32 v17, v11, 16, 1
	v_cndmask_b32_e32 v14, 0x7fc00000, v16, vcc_lo
	v_cmp_o_f32_e32 vcc_lo, v4, v4
	v_add3_u32 v18, v4, v18, 0x7fff
	v_bfe_u32 v19, v5, 16, 1
	v_add3_u32 v17, v11, v17, 0x7fff
	s_delay_alu instid0(VALU_DEP_3) | instskip(NEXT) | instid1(VALU_DEP_3)
	v_and_b32_e32 v18, 0xffff0000, v18
	v_add3_u32 v19, v5, v19, 0x7fff
	s_delay_alu instid0(VALU_DEP_3) | instskip(NEXT) | instid1(VALU_DEP_3)
	v_and_b32_e32 v17, 0xffff0000, v17
	v_cndmask_b32_e32 v4, 0x7fc00000, v18, vcc_lo
	v_cmp_o_f32_e32 vcc_lo, v11, v11
	s_delay_alu instid0(VALU_DEP_4) | instskip(NEXT) | instid1(VALU_DEP_4)
	v_and_b32_e32 v19, 0xffff0000, v19
	v_cndmask_b32_e32 v11, 0x7fc00000, v17, vcc_lo
	v_cmp_o_f32_e32 vcc_lo, v5, v5
	s_delay_alu instid0(VALU_DEP_3) | instskip(SKIP_1) | instid1(VALU_DEP_2)
	v_cndmask_b32_e32 v5, 0x7fc00000, v19, vcc_lo
	v_cmp_o_f32_e32 vcc_lo, v3, v3
	v_dual_mul_f32 v5, v8, v5 :: v_dual_mul_f32 v4, v8, v4
	v_cndmask_b32_e32 v3, 0x7fc00000, v13, vcc_lo
	v_dual_mul_f32 v11, v8, v11 :: v_dual_mul_f32 v13, v8, v14
	v_cmp_o_f32_e32 vcc_lo, v10, v10
	s_delay_alu instid0(VALU_DEP_4) | instskip(SKIP_1) | instid1(VALU_DEP_4)
	v_rndne_f32_e32 v4, v4
	v_rndne_f32_e32 v5, v5
	;; [unrolled: 1-line block ×4, first 2 shown]
	v_cndmask_b32_e32 v7, 0x7fc00000, v7, vcc_lo
	v_cmp_nlt_f32_e32 vcc_lo, 0x42fe0000, v4
	v_cndmask_b32_e32 v13, 0x42fe0000, v4, vcc_lo
	s_delay_alu instid0(VALU_DEP_4)
	v_cmp_nlt_f32_e32 vcc_lo, 0x42fe0000, v10
	v_cndmask_b32_e32 v14, 0x42fe0000, v10, vcc_lo
	v_cmp_nlt_f32_e32 vcc_lo, 0x42fe0000, v11
	v_cndmask_b32_e32 v16, 0x42fe0000, v11, vcc_lo
	v_cmp_ngt_f32_e32 vcc_lo, 0xc3000000, v4
	v_cndmask_b32_e32 v4, 0xc3000000, v13, vcc_lo
	v_cmp_nlt_f32_e32 vcc_lo, 0x42fe0000, v5
	s_delay_alu instid0(VALU_DEP_2) | instskip(SKIP_2) | instid1(VALU_DEP_3)
	v_cvt_i32_f32_e32 v4, v4
	v_cndmask_b32_e32 v13, 0x42fe0000, v5, vcc_lo
	v_cmp_ngt_f32_e32 vcc_lo, 0xc3000000, v11
	v_and_b32_e32 v4, 0xff, v4
	v_cndmask_b32_e32 v11, 0xc3000000, v16, vcc_lo
	v_cmp_ngt_f32_e32 vcc_lo, 0xc3000000, v10
	s_delay_alu instid0(VALU_DEP_3) | instskip(NEXT) | instid1(VALU_DEP_3)
	v_lshlrev_b32_e32 v4, 16, v4
	v_cvt_i32_f32_e32 v11, v11
	v_cndmask_b32_e32 v10, 0xc3000000, v14, vcc_lo
	v_cmp_ngt_f32_e32 vcc_lo, 0xc3000000, v5
	s_delay_alu instid0(VALU_DEP_3) | instskip(NEXT) | instid1(VALU_DEP_3)
	v_and_b32_e32 v11, 0xff, v11
	v_cvt_i32_f32_e32 v10, v10
	v_cndmask_b32_e32 v5, 0xc3000000, v13, vcc_lo
	v_cmp_o_f32_e32 vcc_lo, v12, v12
	s_delay_alu instid0(VALU_DEP_3) | instskip(NEXT) | instid1(VALU_DEP_3)
	v_and_b32_e32 v10, 0xff, v10
	v_cvt_i32_f32_e32 v5, v5
	v_cndmask_b32_e32 v6, 0x7fc0, v6, vcc_lo
	v_cmp_o_f32_e32 vcc_lo, v2, v2
	s_delay_alu instid0(VALU_DEP_2) | instskip(SKIP_3) | instid1(VALU_DEP_4)
	v_dual_add_nc_u32 v2, s2, v0 :: v_dual_bitop2_b32 v6, v6, v7 bitop3:0x54
	v_cndmask_b32_e32 v12, 0x7fc0, v15, vcc_lo
	v_lshlrev_b32_e32 v7, 8, v11
	v_lshl_or_b32 v11, v5, 24, v4
	v_or3_b32 v4, v6, 0, 0
	s_delay_alu instid0(VALU_DEP_4) | instskip(NEXT) | instid1(VALU_DEP_3)
	v_or3_b32 v5, 0, v12, v3
	v_or3_b32 v3, v11, v7, v10
	s_clause 0x1
	global_store_b64 v9, v[4:5], s[14:15] scale_offset
	global_store_b32 v9, v3, s[0:1] scale_offset
	s_wait_xcnt 0x0
	v_cmpx_gt_u32_e64 s11, v2
	s_cbranch_execz .LBB14_65
; %bb.69:                               ;   in Loop: Header=BB14_67 Depth=1
	s_clause 0x2
	global_load_b64 v[4:5], v2, s[12:13] scale_offset
	global_load_b64 v[6:7], v2, s[22:23] scale_offset
	global_load_b64 v[10:11], v2, s[14:15] scale_offset
	s_mov_b32 s10, -1
	s_mov_b32 s9, exec_lo
	s_wait_loadcnt 0x2
	v_and_b32_e32 v3, 0xffff0000, v4
	s_wait_loadcnt 0x0
	v_dual_lshlrev_b32 v13, 16, v4 :: v_dual_lshlrev_b32 v15, 16, v10
	v_alignbit_b32 v4, v5, v4, 16
	v_and_b32_e32 v14, 0xffff0000, v10
	v_alignbit_b32 v10, v11, v10, 16
	s_delay_alu instid0(VALU_DEP_4) | instskip(NEXT) | instid1(VALU_DEP_4)
	v_dual_add_f32 v13, v13, v15 :: v_dual_lshlrev_b32 v16, 16, v6
	v_and_b32_e32 v4, 0xffff0000, v4
	v_and_b32_e32 v5, 0xffff0000, v5
	s_delay_alu instid0(VALU_DEP_4) | instskip(SKIP_3) | instid1(VALU_DEP_3)
	v_and_b32_e32 v10, 0xffff0000, v10
	v_and_b32_e32 v11, 0xffff0000, v11
	v_dual_add_f32 v3, v3, v14 :: v_dual_mul_f32 v15, v1, v13
	v_and_b32_e32 v12, 0xffff0000, v6
	v_dual_add_f32 v4, v4, v10 :: v_dual_add_f32 v5, v5, v11
	v_bfe_u32 v10, v13, 16, 1
	s_delay_alu instid0(VALU_DEP_4)
	v_mul_f32_e32 v17, v1, v3
	v_bfe_u32 v21, v15, 16, 1
	v_cmp_o_f32_e32 vcc_lo, v15, v15
	v_mul_f32_e32 v18, v1, v5
	v_add3_u32 v10, v13, v10, 0x7fff
	v_mul_f32_e32 v19, v1, v4
	v_bfe_u32 v22, v17, 16, 1
	v_add3_u32 v21, v15, v21, 0x7fff
	v_bfe_u32 v23, v18, 16, 1
	v_lshrrev_b32_e32 v10, 16, v10
	v_bfe_u32 v24, v19, 16, 1
	v_add3_u32 v22, v17, v22, 0x7fff
	v_and_b32_e32 v21, 0xffff0000, v21
	v_add3_u32 v23, v18, v23, 0x7fff
	v_alignbit_b32 v6, v7, v6, 16
	v_add3_u32 v24, v19, v24, 0x7fff
	v_and_b32_e32 v22, 0xffff0000, v22
	v_cndmask_b32_e32 v15, 0x7fc00000, v21, vcc_lo
	v_cmp_o_f32_e32 vcc_lo, v17, v17
	v_and_b32_e32 v23, 0xffff0000, v23
	v_and_b32_e32 v24, 0xffff0000, v24
	;; [unrolled: 1-line block ×4, first 2 shown]
	v_cndmask_b32_e32 v17, 0x7fc00000, v22, vcc_lo
	v_cmp_o_f32_e32 vcc_lo, v19, v19
	v_bfe_u32 v20, v4, 16, 1
	v_bfe_u32 v14, v5, 16, 1
	;; [unrolled: 1-line block ×3, first 2 shown]
	v_mul_f32_e32 v12, v17, v12
	v_cndmask_b32_e32 v19, 0x7fc00000, v24, vcc_lo
	v_cmp_o_f32_e32 vcc_lo, v18, v18
	v_mul_f32_e32 v15, v15, v16
	v_add3_u32 v16, v4, v20, 0x7fff
	v_add3_u32 v14, v5, v14, 0x7fff
	;; [unrolled: 1-line block ×3, first 2 shown]
	v_cndmask_b32_e32 v18, 0x7fc00000, v23, vcc_lo
	v_mul_f32_e32 v6, v19, v6
	v_bfe_u32 v17, v15, 16, 1
	v_cmp_o_f32_e32 vcc_lo, v15, v15
	v_and_b32_e32 v14, 0xffff0000, v14
	v_mul_f32_e32 v7, v18, v7
	v_bfe_u32 v19, v6, 16, 1
	v_add3_u32 v17, v15, v17, 0x7fff
	v_bfe_u32 v18, v12, 16, 1
	v_and_b32_e32 v11, 0xffff0000, v11
	v_bfe_u32 v20, v7, 16, 1
	v_add3_u32 v19, v6, v19, 0x7fff
	v_and_b32_e32 v17, 0xffff0000, v17
	v_add3_u32 v18, v12, v18, 0x7fff
	v_lshrrev_b32_e32 v16, 16, v16
	v_add3_u32 v20, v7, v20, 0x7fff
	v_and_b32_e32 v19, 0xffff0000, v19
	v_cndmask_b32_e32 v15, 0x7fc00000, v17, vcc_lo
	v_cmp_o_f32_e32 vcc_lo, v6, v6
	v_and_b32_e32 v18, 0xffff0000, v18
	v_and_b32_e32 v20, 0xffff0000, v20
	v_cndmask_b32_e32 v6, 0x7fc00000, v19, vcc_lo
	v_cmp_o_f32_e32 vcc_lo, v12, v12
	s_delay_alu instid0(VALU_DEP_2) | instskip(SKIP_2) | instid1(VALU_DEP_3)
	v_mul_f32_e32 v6, v8, v6
	v_cndmask_b32_e32 v12, 0x7fc00000, v18, vcc_lo
	v_cmp_o_f32_e32 vcc_lo, v7, v7
	v_rndne_f32_e32 v6, v6
	v_cndmask_b32_e32 v7, 0x7fc00000, v20, vcc_lo
	v_cmp_o_f32_e32 vcc_lo, v5, v5
	s_delay_alu instid0(VALU_DEP_2) | instskip(SKIP_3) | instid1(VALU_DEP_4)
	v_mul_f32_e32 v7, v8, v7
	v_dual_cndmask_b32 v5, 0x7fc00000, v14 :: v_dual_mul_f32 v12, v8, v12
	v_mul_f32_e32 v14, v8, v15
	v_cmp_o_f32_e32 vcc_lo, v3, v3
	v_rndne_f32_e32 v7, v7
	s_delay_alu instid0(VALU_DEP_4) | instskip(SKIP_4) | instid1(VALU_DEP_3)
	v_rndne_f32_e32 v12, v12
	v_cndmask_b32_e32 v3, 0x7fc00000, v11, vcc_lo
	v_rndne_f32_e32 v11, v14
	v_cmp_nlt_f32_e32 vcc_lo, 0x42fe0000, v6
	v_cndmask_b32_e32 v14, 0x42fe0000, v6, vcc_lo
	v_cmp_nlt_f32_e32 vcc_lo, 0x42fe0000, v11
	v_cndmask_b32_e32 v15, 0x42fe0000, v11, vcc_lo
	;; [unrolled: 2-line block ×3, first 2 shown]
	v_cmp_ngt_f32_e32 vcc_lo, 0xc3000000, v6
	v_cndmask_b32_e32 v6, 0xc3000000, v14, vcc_lo
	v_cmp_nlt_f32_e32 vcc_lo, 0x42fe0000, v7
	s_delay_alu instid0(VALU_DEP_2) | instskip(SKIP_2) | instid1(VALU_DEP_3)
	v_cvt_i32_f32_e32 v6, v6
	v_cndmask_b32_e32 v14, 0x42fe0000, v7, vcc_lo
	v_cmp_ngt_f32_e32 vcc_lo, 0xc3000000, v12
	v_and_b32_e32 v6, 0xff, v6
	v_cndmask_b32_e32 v12, 0xc3000000, v17, vcc_lo
	v_cmp_ngt_f32_e32 vcc_lo, 0xc3000000, v11
	s_delay_alu instid0(VALU_DEP_3) | instskip(NEXT) | instid1(VALU_DEP_3)
	v_lshlrev_b32_e32 v6, 16, v6
	v_cvt_i32_f32_e32 v12, v12
	v_cndmask_b32_e32 v11, 0xc3000000, v15, vcc_lo
	v_cmp_ngt_f32_e32 vcc_lo, 0xc3000000, v7
	s_delay_alu instid0(VALU_DEP_3) | instskip(NEXT) | instid1(VALU_DEP_3)
	v_and_b32_e32 v12, 0xff, v12
	v_cvt_i32_f32_e32 v11, v11
	v_cndmask_b32_e32 v7, 0xc3000000, v14, vcc_lo
	v_cmp_o_f32_e32 vcc_lo, v13, v13
	s_delay_alu instid0(VALU_DEP_4) | instskip(NEXT) | instid1(VALU_DEP_3)
	v_lshlrev_b32_e32 v12, 8, v12
	v_cvt_i32_f32_e32 v7, v7
	v_cndmask_b32_e32 v10, 0x7fc0, v10, vcc_lo
	v_cmp_o_f32_e32 vcc_lo, v4, v4
	s_delay_alu instid0(VALU_DEP_3) | instskip(NEXT) | instid1(VALU_DEP_3)
	v_lshl_or_b32 v6, v7, 24, v6
	v_dual_add_nc_u32 v10, s3, v0 :: v_dual_bitop2_b32 v3, v10, v3 bitop3:0x54
	v_cndmask_b32_e32 v4, 0x7fc0, v16, vcc_lo
	v_and_b32_e32 v7, 0xff, v11
	s_delay_alu instid0(VALU_DEP_2) | instskip(NEXT) | instid1(VALU_DEP_4)
	v_or3_b32 v5, 0, v4, v5
	v_or3_b32 v4, v3, 0, 0
	s_delay_alu instid0(VALU_DEP_3)
	v_or3_b32 v0, v6, v12, v7
	s_clause 0x1
	global_store_b64 v2, v[4:5], s[14:15] scale_offset
	global_store_b32 v2, v0, s[0:1] scale_offset
                                        ; implicit-def: $vgpr0
	s_wait_xcnt 0x0
	v_cmpx_gt_u32_e64 s11, v10
	s_cbranch_execz .LBB14_64
; %bb.70:                               ;   in Loop: Header=BB14_67 Depth=1
	s_clause 0x2
	global_load_b64 v[4:5], v10, s[12:13] scale_offset
	global_load_b64 v[2:3], v10, s[22:23] scale_offset
	;; [unrolled: 1-line block ×3, first 2 shown]
	v_add3_u32 v0, s5, s20, v9
	s_wait_loadcnt 0x2
	v_and_b32_e32 v9, 0xffff0000, v4
	s_wait_loadcnt 0x0
	v_dual_lshlrev_b32 v12, 16, v4 :: v_dual_lshlrev_b32 v14, 16, v6
	v_alignbit_b32 v4, v5, v4, 16
	v_and_b32_e32 v13, 0xffff0000, v6
	v_alignbit_b32 v6, v7, v6, 16
	v_and_b32_e32 v5, 0xffff0000, v5
	v_and_b32_e32 v7, 0xffff0000, v7
	;; [unrolled: 1-line block ×3, first 2 shown]
	v_add_f32_e32 v12, v12, v14
	v_and_b32_e32 v6, 0xffff0000, v6
	v_dual_lshlrev_b32 v15, 16, v2 :: v_dual_add_f32 v9, v9, v13
	v_add_f32_e32 v5, v5, v7
	s_delay_alu instid0(VALU_DEP_3) | instskip(SKIP_1) | instid1(VALU_DEP_4)
	v_dual_mul_f32 v14, v1, v12 :: v_dual_add_f32 v4, v4, v6
	v_bfe_u32 v6, v12, 16, 1
	v_mul_f32_e32 v16, v1, v9
	v_and_b32_e32 v11, 0xffff0000, v2
	s_delay_alu instid0(VALU_DEP_4)
	v_bfe_u32 v20, v14, 16, 1
	v_mul_f32_e32 v18, v1, v4
	v_add3_u32 v6, v12, v6, 0x7fff
	v_bfe_u32 v21, v16, 16, 1
	v_mul_f32_e32 v17, v1, v5
	v_add3_u32 v20, v14, v20, 0x7fff
	v_bfe_u32 v23, v18, 16, 1
	v_cmp_o_f32_e32 vcc_lo, v14, v14
	v_add3_u32 v21, v16, v21, 0x7fff
	v_lshrrev_b32_e32 v6, 16, v6
	v_and_b32_e32 v20, 0xffff0000, v20
	v_bfe_u32 v22, v17, 16, 1
	v_add3_u32 v23, v18, v23, 0x7fff
	v_and_b32_e32 v21, 0xffff0000, v21
	v_alignbit_b32 v2, v3, v2, 16
	v_cndmask_b32_e32 v14, 0x7fc00000, v20, vcc_lo
	v_cmp_o_f32_e32 vcc_lo, v16, v16
	v_and_b32_e32 v3, 0xffff0000, v3
	v_add3_u32 v22, v17, v22, 0x7fff
	v_and_b32_e32 v23, 0xffff0000, v23
	v_and_b32_e32 v2, 0xffff0000, v2
	v_cndmask_b32_e32 v16, 0x7fc00000, v21, vcc_lo
	v_cmp_o_f32_e32 vcc_lo, v18, v18
	v_and_b32_e32 v22, 0xffff0000, v22
	v_bfe_u32 v19, v4, 16, 1
	v_bfe_u32 v13, v5, 16, 1
	;; [unrolled: 1-line block ×3, first 2 shown]
	v_cndmask_b32_e32 v18, 0x7fc00000, v23, vcc_lo
	v_cmp_o_f32_e32 vcc_lo, v17, v17
	s_delay_alu instid0(VALU_DEP_4) | instskip(NEXT) | instid1(VALU_DEP_4)
	v_add3_u32 v13, v5, v13, 0x7fff
	v_add3_u32 v7, v9, v7, 0x7fff
	v_cndmask_b32_e32 v17, 0x7fc00000, v22, vcc_lo
	s_delay_alu instid0(VALU_DEP_3) | instskip(NEXT) | instid1(VALU_DEP_3)
	v_and_b32_e32 v13, 0xffff0000, v13
	v_and_b32_e32 v7, 0xffff0000, v7
	s_delay_alu instid0(VALU_DEP_3)
	v_mul_f32_e32 v3, v17, v3
	v_mul_f32_e32 v11, v16, v11
	v_mul_f32_e32 v14, v14, v15
	v_add3_u32 v15, v4, v19, 0x7fff
	v_mul_f32_e32 v2, v18, v2
	v_bfe_u32 v19, v3, 16, 1
	v_bfe_u32 v17, v11, 16, 1
	;; [unrolled: 1-line block ×3, first 2 shown]
	v_lshrrev_b32_e32 v15, 16, v15
	v_bfe_u32 v18, v2, 16, 1
	v_cmp_o_f32_e32 vcc_lo, v14, v14
	v_add3_u32 v17, v11, v17, 0x7fff
	v_add3_u32 v16, v14, v16, 0x7fff
	;; [unrolled: 1-line block ×4, first 2 shown]
	s_delay_alu instid0(VALU_DEP_4) | instskip(NEXT) | instid1(VALU_DEP_4)
	v_and_b32_e32 v17, 0xffff0000, v17
	v_and_b32_e32 v16, 0xffff0000, v16
	s_delay_alu instid0(VALU_DEP_4) | instskip(NEXT) | instid1(VALU_DEP_4)
	v_and_b32_e32 v19, 0xffff0000, v19
	v_and_b32_e32 v18, 0xffff0000, v18
	s_delay_alu instid0(VALU_DEP_3) | instskip(SKIP_1) | instid1(VALU_DEP_3)
	v_cndmask_b32_e32 v14, 0x7fc00000, v16, vcc_lo
	v_cmp_o_f32_e32 vcc_lo, v2, v2
	v_cndmask_b32_e32 v2, 0x7fc00000, v18, vcc_lo
	v_cmp_o_f32_e32 vcc_lo, v11, v11
	;; [unrolled: 2-line block ×4, first 2 shown]
	s_delay_alu instid0(VALU_DEP_2) | instskip(SKIP_3) | instid1(VALU_DEP_4)
	v_dual_mul_f32 v3, v8, v3 :: v_dual_mul_f32 v2, v8, v2
	v_cndmask_b32_e32 v5, 0x7fc00000, v13, vcc_lo
	v_dual_mul_f32 v11, v8, v11 :: v_dual_mul_f32 v13, v8, v14
	v_cmp_o_f32_e32 vcc_lo, v9, v9
	v_rndne_f32_e32 v2, v2
	v_rndne_f32_e32 v3, v3
	s_delay_alu instid0(VALU_DEP_4) | instskip(SKIP_4) | instid1(VALU_DEP_4)
	v_rndne_f32_e32 v11, v11
	v_rndne_f32_e32 v9, v13
	v_cndmask_b32_e32 v7, 0x7fc00000, v7, vcc_lo
	v_cmp_nlt_f32_e32 vcc_lo, 0x42fe0000, v2
	v_cndmask_b32_e32 v13, 0x42fe0000, v2, vcc_lo
	v_cmp_nlt_f32_e32 vcc_lo, 0x42fe0000, v9
	;; [unrolled: 2-line block ×3, first 2 shown]
	v_cndmask_b32_e32 v16, 0x42fe0000, v11, vcc_lo
	v_cmp_ngt_f32_e32 vcc_lo, 0xc3000000, v2
	v_cndmask_b32_e32 v2, 0xc3000000, v13, vcc_lo
	v_cmp_nlt_f32_e32 vcc_lo, 0x42fe0000, v3
	s_delay_alu instid0(VALU_DEP_2) | instskip(SKIP_2) | instid1(VALU_DEP_3)
	v_cvt_i32_f32_e32 v2, v2
	v_cndmask_b32_e32 v13, 0x42fe0000, v3, vcc_lo
	v_cmp_ngt_f32_e32 vcc_lo, 0xc3000000, v11
	v_and_b32_e32 v2, 0xff, v2
	v_cndmask_b32_e32 v11, 0xc3000000, v16, vcc_lo
	v_cmp_ngt_f32_e32 vcc_lo, 0xc3000000, v9
	s_delay_alu instid0(VALU_DEP_3) | instskip(NEXT) | instid1(VALU_DEP_3)
	v_lshlrev_b32_e32 v2, 16, v2
	v_cvt_i32_f32_e32 v11, v11
	v_cndmask_b32_e32 v9, 0xc3000000, v14, vcc_lo
	v_cmp_ngt_f32_e32 vcc_lo, 0xc3000000, v3
	s_delay_alu instid0(VALU_DEP_3) | instskip(NEXT) | instid1(VALU_DEP_3)
	v_and_b32_e32 v11, 0xff, v11
	v_cvt_i32_f32_e32 v9, v9
	v_cndmask_b32_e32 v3, 0xc3000000, v13, vcc_lo
	v_cmp_o_f32_e32 vcc_lo, v12, v12
	s_delay_alu instid0(VALU_DEP_3) | instskip(NEXT) | instid1(VALU_DEP_3)
	v_and_b32_e32 v9, 0xff, v9
	v_cvt_i32_f32_e32 v3, v3
	v_cndmask_b32_e32 v6, 0x7fc0, v6, vcc_lo
	v_cmp_o_f32_e32 vcc_lo, v4, v4
	s_delay_alu instid0(VALU_DEP_2)
	v_or_b32_e32 v6, v6, v7
	v_cndmask_b32_e32 v4, 0x7fc0, v15, vcc_lo
	v_lshlrev_b32_e32 v7, 8, v11
	v_lshl_or_b32 v11, v3, 24, v2
	v_cmp_le_u32_e32 vcc_lo, s11, v0
	v_or3_b32 v2, v6, 0, 0
	v_or3_b32 v3, 0, v4, v5
	s_delay_alu instid0(VALU_DEP_4)
	v_or3_b32 v4, v11, v7, v9
	s_or_not1_b32 s10, vcc_lo, exec_lo
	s_clause 0x1
	global_store_b64 v10, v[2:3], s[14:15] scale_offset
	global_store_b32 v10, v4, s[0:1] scale_offset
	s_branch .LBB14_64
.LBB14_71:
	s_endpgm
	.section	.rodata,"a",@progbits
	.p2align	6, 0x0
	.amdhsa_kernel _ZN4vllm39rms_norm_dynamic_per_token_quant_kernelIN3c108BFloat16EaLb1EEEvPT0_PfPKT_S8_PKffiPS6_
		.amdhsa_group_segment_fixed_size 272
		.amdhsa_private_segment_fixed_size 0
		.amdhsa_kernarg_size 312
		.amdhsa_user_sgpr_count 2
		.amdhsa_user_sgpr_dispatch_ptr 0
		.amdhsa_user_sgpr_queue_ptr 0
		.amdhsa_user_sgpr_kernarg_segment_ptr 1
		.amdhsa_user_sgpr_dispatch_id 0
		.amdhsa_user_sgpr_kernarg_preload_length 0
		.amdhsa_user_sgpr_kernarg_preload_offset 0
		.amdhsa_user_sgpr_private_segment_size 0
		.amdhsa_wavefront_size32 1
		.amdhsa_uses_dynamic_stack 0
		.amdhsa_enable_private_segment 0
		.amdhsa_system_sgpr_workgroup_id_x 1
		.amdhsa_system_sgpr_workgroup_id_y 0
		.amdhsa_system_sgpr_workgroup_id_z 0
		.amdhsa_system_sgpr_workgroup_info 0
		.amdhsa_system_vgpr_workitem_id 0
		.amdhsa_next_free_vgpr 25
		.amdhsa_next_free_sgpr 40
		.amdhsa_named_barrier_count 0
		.amdhsa_reserve_vcc 1
		.amdhsa_float_round_mode_32 0
		.amdhsa_float_round_mode_16_64 0
		.amdhsa_float_denorm_mode_32 3
		.amdhsa_float_denorm_mode_16_64 3
		.amdhsa_fp16_overflow 0
		.amdhsa_memory_ordered 1
		.amdhsa_forward_progress 1
		.amdhsa_inst_pref_size 101
		.amdhsa_round_robin_scheduling 0
		.amdhsa_exception_fp_ieee_invalid_op 0
		.amdhsa_exception_fp_denorm_src 0
		.amdhsa_exception_fp_ieee_div_zero 0
		.amdhsa_exception_fp_ieee_overflow 0
		.amdhsa_exception_fp_ieee_underflow 0
		.amdhsa_exception_fp_ieee_inexact 0
		.amdhsa_exception_int_div_zero 0
	.end_amdhsa_kernel
	.section	.text._ZN4vllm39rms_norm_dynamic_per_token_quant_kernelIN3c108BFloat16EaLb1EEEvPT0_PfPKT_S8_PKffiPS6_,"axG",@progbits,_ZN4vllm39rms_norm_dynamic_per_token_quant_kernelIN3c108BFloat16EaLb1EEEvPT0_PfPKT_S8_PKffiPS6_,comdat
.Lfunc_end14:
	.size	_ZN4vllm39rms_norm_dynamic_per_token_quant_kernelIN3c108BFloat16EaLb1EEEvPT0_PfPKT_S8_PKffiPS6_, .Lfunc_end14-_ZN4vllm39rms_norm_dynamic_per_token_quant_kernelIN3c108BFloat16EaLb1EEEvPT0_PfPKT_S8_PKffiPS6_
                                        ; -- End function
	.set _ZN4vllm39rms_norm_dynamic_per_token_quant_kernelIN3c108BFloat16EaLb1EEEvPT0_PfPKT_S8_PKffiPS6_.num_vgpr, 25
	.set _ZN4vllm39rms_norm_dynamic_per_token_quant_kernelIN3c108BFloat16EaLb1EEEvPT0_PfPKT_S8_PKffiPS6_.num_agpr, 0
	.set _ZN4vllm39rms_norm_dynamic_per_token_quant_kernelIN3c108BFloat16EaLb1EEEvPT0_PfPKT_S8_PKffiPS6_.numbered_sgpr, 40
	.set _ZN4vllm39rms_norm_dynamic_per_token_quant_kernelIN3c108BFloat16EaLb1EEEvPT0_PfPKT_S8_PKffiPS6_.num_named_barrier, 0
	.set _ZN4vllm39rms_norm_dynamic_per_token_quant_kernelIN3c108BFloat16EaLb1EEEvPT0_PfPKT_S8_PKffiPS6_.private_seg_size, 0
	.set _ZN4vllm39rms_norm_dynamic_per_token_quant_kernelIN3c108BFloat16EaLb1EEEvPT0_PfPKT_S8_PKffiPS6_.uses_vcc, 1
	.set _ZN4vllm39rms_norm_dynamic_per_token_quant_kernelIN3c108BFloat16EaLb1EEEvPT0_PfPKT_S8_PKffiPS6_.uses_flat_scratch, 0
	.set _ZN4vllm39rms_norm_dynamic_per_token_quant_kernelIN3c108BFloat16EaLb1EEEvPT0_PfPKT_S8_PKffiPS6_.has_dyn_sized_stack, 0
	.set _ZN4vllm39rms_norm_dynamic_per_token_quant_kernelIN3c108BFloat16EaLb1EEEvPT0_PfPKT_S8_PKffiPS6_.has_recursion, 0
	.set _ZN4vllm39rms_norm_dynamic_per_token_quant_kernelIN3c108BFloat16EaLb1EEEvPT0_PfPKT_S8_PKffiPS6_.has_indirect_call, 0
	.section	.AMDGPU.csdata,"",@progbits
; Kernel info:
; codeLenInByte = 12864
; TotalNumSgprs: 42
; NumVgprs: 25
; ScratchSize: 0
; MemoryBound: 0
; FloatMode: 240
; IeeeMode: 1
; LDSByteSize: 272 bytes/workgroup (compile time only)
; SGPRBlocks: 0
; VGPRBlocks: 1
; NumSGPRsForWavesPerEU: 42
; NumVGPRsForWavesPerEU: 25
; NamedBarCnt: 0
; Occupancy: 16
; WaveLimiterHint : 0
; COMPUTE_PGM_RSRC2:SCRATCH_EN: 0
; COMPUTE_PGM_RSRC2:USER_SGPR: 2
; COMPUTE_PGM_RSRC2:TRAP_HANDLER: 0
; COMPUTE_PGM_RSRC2:TGID_X_EN: 1
; COMPUTE_PGM_RSRC2:TGID_Y_EN: 0
; COMPUTE_PGM_RSRC2:TGID_Z_EN: 0
; COMPUTE_PGM_RSRC2:TIDIG_COMP_CNT: 0
	.section	.text._ZN4vllm39rms_norm_dynamic_per_token_quant_kernelIN3c108BFloat16ENS1_13Float8_e4m3fnELb0EEEvPT0_PfPKT_S9_PKffiPS7_,"axG",@progbits,_ZN4vllm39rms_norm_dynamic_per_token_quant_kernelIN3c108BFloat16ENS1_13Float8_e4m3fnELb0EEEvPT0_PfPKT_S9_PKffiPS7_,comdat
	.protected	_ZN4vllm39rms_norm_dynamic_per_token_quant_kernelIN3c108BFloat16ENS1_13Float8_e4m3fnELb0EEEvPT0_PfPKT_S9_PKffiPS7_ ; -- Begin function _ZN4vllm39rms_norm_dynamic_per_token_quant_kernelIN3c108BFloat16ENS1_13Float8_e4m3fnELb0EEEvPT0_PfPKT_S9_PKffiPS7_
	.globl	_ZN4vllm39rms_norm_dynamic_per_token_quant_kernelIN3c108BFloat16ENS1_13Float8_e4m3fnELb0EEEvPT0_PfPKT_S9_PKffiPS7_
	.p2align	8
	.type	_ZN4vllm39rms_norm_dynamic_per_token_quant_kernelIN3c108BFloat16ENS1_13Float8_e4m3fnELb0EEEvPT0_PfPKT_S9_PKffiPS7_,@function
_ZN4vllm39rms_norm_dynamic_per_token_quant_kernelIN3c108BFloat16ENS1_13Float8_e4m3fnELb0EEEvPT0_PfPKT_S9_PKffiPS7_: ; @_ZN4vllm39rms_norm_dynamic_per_token_quant_kernelIN3c108BFloat16ENS1_13Float8_e4m3fnELb0EEEvPT0_PfPKT_S9_PKffiPS7_
; %bb.0:
	s_clause 0x1
	s_load_b128 s[20:23], s[0:1], 0x20
	s_load_b256 s[12:19], s[0:1], 0x0
	s_getreg_b32 s26, hwreg(HW_REG_IB_STS2, 6, 4)
	s_wait_kmcnt 0x0
	s_and_b32 s2, s23, 3
	s_delay_alu instid0(SALU_CYCLE_1)
	s_cmp_lg_u32 s2, 0
	s_cbranch_scc0 .LBB15_37
; %bb.1:
	s_bfe_u32 s2, ttmp6, 0x4000c
	s_and_b32 s3, ttmp6, 15
	s_add_co_i32 s2, s2, 1
	v_cmp_le_u32_e64 s5, s23, v0
	s_mul_i32 s4, ttmp9, s2
	v_cmp_gt_u32_e64 s2, s23, v0
	s_add_co_i32 s3, s3, s4
	s_cmp_eq_u32 s26, 0
                                        ; implicit-def: $sgpr6_sgpr7
	s_cselect_b32 s24, ttmp9, s3
	s_and_saveexec_b32 s3, s5
	s_delay_alu instid0(SALU_CYCLE_1)
	s_xor_b32 s3, exec_lo, s3
; %bb.2:
	s_add_nc_u64 s[6:7], s[0:1], 56
; %bb.3:
	s_or_saveexec_b32 s3, s3
	v_mov_b64_e32 v[2:3], s[6:7]
	v_mov_b32_e32 v5, 0
	s_xor_b32 exec_lo, exec_lo, s3
	s_cbranch_execz .LBB15_7
; %bb.4:
	s_load_b32 s4, s[0:1], 0x44
	s_ashr_i32 s7, s23, 31
	s_mov_b32 s6, s23
	s_mov_b32 s25, 0
	v_dual_mov_b32 v5, 0 :: v_dual_mov_b32 v1, v0
	s_mul_u64 s[6:7], s[6:7], s[24:25]
	s_delay_alu instid0(SALU_CYCLE_1) | instskip(NEXT) | instid1(SALU_CYCLE_1)
	s_lshl_b64 s[6:7], s[6:7], 1
	s_add_nc_u64 s[8:9], s[16:17], s[6:7]
	s_add_nc_u64 s[6:7], s[0:1], 56
	s_wait_kmcnt 0x0
	s_and_b32 s4, s4, 0xffff
.LBB15_5:                               ; =>This Inner Loop Header: Depth=1
	global_load_u16 v2, v1, s[8:9] scale_offset
	s_wait_xcnt 0x0
	v_add_nc_u32_e32 v1, s4, v1
	s_delay_alu instid0(VALU_DEP_1)
	v_cmp_le_u32_e32 vcc_lo, s23, v1
	s_or_b32 s25, vcc_lo, s25
	s_wait_loadcnt 0x0
	v_fma_mix_f32_bf16 v5, v2, v2, v5 op_sel_hi:[1,1,0]
	s_and_not1_b32 exec_lo, exec_lo, s25
	s_cbranch_execnz .LBB15_5
; %bb.6:
	s_or_b32 exec_lo, exec_lo, s25
	v_mov_b64_e32 v[2:3], s[6:7]
.LBB15_7:
	s_or_b32 exec_lo, exec_lo, s3
	global_load_b32 v1, v[2:3], off
	v_mov_b32_e32 v7, 0
	v_mbcnt_lo_u32_b32 v4, -1, 0
	v_and_b32_e32 v10, 0x3c0, v0
	s_delay_alu instid0(VALU_DEP_2)
	v_cmp_eq_u32_e64 s3, 0, v4
	v_dual_add_nc_u32 v13, 2, v4 :: v_dual_add_nc_u32 v15, 4, v4
	v_dual_add_nc_u32 v18, 8, v4 :: v_dual_add_nc_u32 v17, 16, v4
	v_or_b32_e32 v19, 32, v4
	s_wait_loadcnt 0x0
	v_cmp_lt_u32_e32 vcc_lo, s24, v1
	v_cndmask_b32_e64 v6, 18, 12, vcc_lo
	v_cmp_ne_u32_e32 vcc_lo, 63, v4
	s_delay_alu instid0(VALU_DEP_2)
	v_add_nc_u64_e32 v[2:3], v[2:3], v[6:7]
	v_lshlrev_b32_e32 v7, 2, v4
	global_load_u16 v1, v[2:3], off
	s_wait_xcnt 0x0
	v_add_co_ci_u32_e64 v2, null, 0, v4, vcc_lo
	v_cmp_gt_u32_e32 vcc_lo, 62, v4
	s_delay_alu instid0(VALU_DEP_2)
	v_lshlrev_b32_e32 v9, 2, v2
	v_cndmask_b32_e64 v3, 0, 2, vcc_lo
	ds_bpermute_b32 v2, v9, v5
	v_add_nc_u32_e32 v8, 1, v4
	v_add_lshl_u32 v11, v3, v4, 2
	s_wait_dscnt 0x0
	v_add_f32_e32 v2, v5, v2
	s_wait_loadcnt 0x0
	v_sub_nc_u32_e64 v6, v1, v10 clamp
	s_delay_alu instid0(VALU_DEP_1) | instskip(NEXT) | instid1(VALU_DEP_3)
	v_cmp_lt_u32_e32 vcc_lo, v8, v6
	v_cndmask_b32_e32 v2, v5, v2, vcc_lo
	v_cmp_gt_u32_e32 vcc_lo, 60, v4
	ds_bpermute_b32 v3, v11, v2
	v_cndmask_b32_e64 v5, 0, 4, vcc_lo
	v_cmp_lt_u32_e32 vcc_lo, v13, v6
	s_delay_alu instid0(VALU_DEP_2) | instskip(SKIP_2) | instid1(VALU_DEP_1)
	v_add_lshl_u32 v12, v5, v4, 2
	s_wait_dscnt 0x0
	v_add_f32_e32 v3, v2, v3
	v_cndmask_b32_e32 v2, v2, v3, vcc_lo
	v_cmp_gt_u32_e32 vcc_lo, 56, v4
	ds_bpermute_b32 v3, v12, v2
	v_cndmask_b32_e64 v5, 0, 8, vcc_lo
	v_cmp_lt_u32_e32 vcc_lo, v15, v6
	s_delay_alu instid0(VALU_DEP_2) | instskip(SKIP_2) | instid1(VALU_DEP_1)
	v_add_lshl_u32 v14, v5, v4, 2
	s_wait_dscnt 0x0
	v_add_f32_e32 v3, v2, v3
	v_cndmask_b32_e32 v2, v2, v3, vcc_lo
	v_cmp_gt_u32_e32 vcc_lo, 48, v4
	ds_bpermute_b32 v3, v14, v2
	v_cndmask_b32_e64 v5, 0, 16, vcc_lo
	v_cmp_lt_u32_e32 vcc_lo, v18, v6
	s_delay_alu instid0(VALU_DEP_2) | instskip(SKIP_2) | instid1(VALU_DEP_1)
	v_add_lshl_u32 v16, v5, v4, 2
	s_wait_dscnt 0x0
	v_add_f32_e32 v3, v2, v3
	v_cndmask_b32_e32 v2, v2, v3, vcc_lo
	v_cmp_lt_u32_e32 vcc_lo, v17, v6
	ds_bpermute_b32 v3, v16, v2
	s_wait_dscnt 0x0
	v_add_f32_e32 v3, v2, v3
	s_delay_alu instid0(VALU_DEP_1) | instskip(SKIP_4) | instid1(VALU_DEP_1)
	v_cndmask_b32_e32 v2, v2, v3, vcc_lo
	v_cmp_lt_u32_e32 vcc_lo, v19, v6
	ds_bpermute_b32 v3, v7, v2 offset:128
	s_wait_dscnt 0x0
	v_add_f32_e32 v3, v2, v3
	v_cndmask_b32_e32 v2, v2, v3, vcc_lo
	s_and_saveexec_b32 s4, s3
; %bb.8:
	v_lshrrev_b32_e32 v3, 4, v0
	s_delay_alu instid0(VALU_DEP_1)
	v_and_b32_e32 v3, 60, v3
	ds_store_b32 v3, v2 offset:128
; %bb.9:
	s_or_b32 exec_lo, exec_lo, s4
	v_cmp_gt_u32_e64 s4, 16, v0
	v_and_b32_e32 v5, 15, v4
	v_or_b32_e32 v6, 32, v7
	s_wait_dscnt 0x0
	s_barrier_signal -1
	s_barrier_wait -1
	s_and_saveexec_b32 s7, s4
	s_cbranch_execz .LBB15_11
; %bb.10:
	ds_load_b32 v2, v7 offset:128
	v_cmp_ne_u32_e32 vcc_lo, 15, v5
	v_cmp_gt_u32_e64 s6, 12, v5
	v_add_nc_u32_e32 v1, 63, v1
	v_add_co_ci_u32_e64 v3, null, 0, v4, vcc_lo
	v_cmp_gt_u32_e32 vcc_lo, 14, v5
	s_delay_alu instid0(VALU_DEP_4) | instskip(NEXT) | instid1(VALU_DEP_3)
	v_cndmask_b32_e64 v22, 0, 4, s6
	v_lshlrev_b32_e32 v3, 2, v3
	v_cndmask_b32_e64 v21, 0, 2, vcc_lo
	s_delay_alu instid0(VALU_DEP_1)
	v_add_lshl_u32 v21, v21, v4, 2
	s_wait_dscnt 0x0
	ds_bpermute_b32 v3, v3, v2
	s_wait_dscnt 0x0
	v_dual_add_f32 v3, v2, v3 :: v_dual_add_nc_u32 v20, 1, v5
	v_lshrrev_b32_e32 v1, 6, v1
	s_delay_alu instid0(VALU_DEP_1) | instskip(NEXT) | instid1(VALU_DEP_3)
	v_cmp_lt_u32_e32 vcc_lo, v20, v1
	v_cndmask_b32_e32 v3, v2, v3, vcc_lo
	ds_bpermute_b32 v20, v21, v3
	s_wait_dscnt 0x0
	v_dual_add_f32 v20, v3, v20 :: v_dual_add_nc_u32 v21, 2, v5
	s_delay_alu instid0(VALU_DEP_1) | instskip(NEXT) | instid1(VALU_DEP_1)
	v_cmp_lt_u32_e64 s6, v21, v1
	v_dual_add_nc_u32 v21, 4, v5 :: v_dual_cndmask_b32 v3, v3, v20, s6
	v_add_lshl_u32 v20, v22, v4, 2
	s_delay_alu instid0(VALU_DEP_2) | instskip(SKIP_4) | instid1(VALU_DEP_1)
	v_cmp_lt_u32_e64 s6, v21, v1
	v_add_nc_u32_e32 v21, 8, v5
	ds_bpermute_b32 v20, v20, v3
	s_wait_dscnt 0x0
	v_add_f32_e32 v20, v3, v20
	v_cndmask_b32_e64 v3, v3, v20, s6
	v_cmp_lt_u32_e64 s6, v21, v1
	ds_bpermute_b32 v20, v6, v3
	s_wait_dscnt 0x0
	v_add_f32_e32 v20, v3, v20
	s_delay_alu instid0(VALU_DEP_1) | instskip(NEXT) | instid1(VALU_DEP_1)
	v_cndmask_b32_e64 v1, v3, v20, s6
	v_cndmask_b32_e32 v2, v2, v1, vcc_lo
.LBB15_11:
	s_or_b32 exec_lo, exec_lo, s7
	v_cmp_eq_u32_e64 s6, 0, v0
	s_mov_b32 s25, 0
	s_and_saveexec_b32 s7, s6
	s_cbranch_execz .LBB15_13
; %bb.12:
	s_cvt_f32_i32 s8, s23
	s_delay_alu instid0(SALU_CYCLE_3) | instskip(SKIP_1) | instid1(VALU_DEP_2)
	v_div_scale_f32 v1, null, s8, s8, v2
	v_div_scale_f32 v21, vcc_lo, v2, s8, v2
	v_rcp_f32_e32 v3, v1
	v_nop
	s_delay_alu instid0(TRANS32_DEP_1) | instskip(NEXT) | instid1(VALU_DEP_1)
	v_fma_f32 v20, -v1, v3, 1.0
	v_fmac_f32_e32 v3, v20, v3
	s_delay_alu instid0(VALU_DEP_1) | instskip(NEXT) | instid1(VALU_DEP_1)
	v_mul_f32_e32 v20, v21, v3
	v_fma_f32 v22, -v1, v20, v21
	s_delay_alu instid0(VALU_DEP_1) | instskip(NEXT) | instid1(VALU_DEP_1)
	v_fmac_f32_e32 v20, v22, v3
	v_fma_f32 v1, -v1, v20, v21
	s_delay_alu instid0(VALU_DEP_1) | instskip(NEXT) | instid1(VALU_DEP_1)
	v_div_fmas_f32 v1, v1, v3, v20
	v_div_fixup_f32 v1, v1, s8, v2
	s_delay_alu instid0(VALU_DEP_1) | instskip(NEXT) | instid1(VALU_DEP_1)
	v_add_f32_e32 v1, s22, v1
	v_mul_f32_e32 v2, 0x4b800000, v1
	v_cmp_gt_f32_e32 vcc_lo, 0x800000, v1
	s_delay_alu instid0(VALU_DEP_2) | instskip(NEXT) | instid1(VALU_DEP_1)
	v_cndmask_b32_e32 v1, v1, v2, vcc_lo
	v_rsq_f32_e32 v1, v1
	v_nop
	s_delay_alu instid0(TRANS32_DEP_1) | instskip(NEXT) | instid1(VALU_DEP_1)
	v_mul_f32_e32 v2, 0x45800000, v1
	v_dual_cndmask_b32 v1, v1, v2 :: v_dual_mov_b32 v2, 0
	ds_store_b32 v2, v1 offset:264
.LBB15_13:
	s_or_b32 exec_lo, exec_lo, s7
	v_mov_b32_e32 v20, 0
	s_wait_dscnt 0x0
	s_barrier_signal -1
	s_barrier_wait -1
	ds_load_b32 v1, v20 offset:264
                                        ; implicit-def: $sgpr8_sgpr9
	s_and_saveexec_b32 s7, s5
	s_delay_alu instid0(SALU_CYCLE_1)
	s_xor_b32 s5, exec_lo, s7
; %bb.14:
	s_add_nc_u64 s[8:9], s[0:1], 56
; %bb.15:
	s_or_saveexec_b32 s7, s5
	v_mov_b64_e32 v[2:3], s[8:9]
	s_xor_b32 exec_lo, exec_lo, s7
	s_cbranch_execz .LBB15_19
; %bb.16:
	s_load_b32 s5, s[0:1], 0x44
	s_ashr_i32 s11, s23, 31
	s_mov_b32 s10, s23
	v_dual_mov_b32 v20, 0 :: v_dual_mov_b32 v2, v0
	s_mul_u64 s[10:11], s[10:11], s[24:25]
	s_add_nc_u64 s[8:9], s[0:1], 56
	s_lshl_b64 s[10:11], s[10:11], 1
	s_mov_b32 s27, 0
	s_add_nc_u64 s[10:11], s[16:17], s[10:11]
	s_wait_kmcnt 0x0
	s_and_b32 s28, s5, 0xffff
.LBB15_17:                              ; =>This Inner Loop Header: Depth=1
	s_clause 0x1
	global_load_u16 v3, v2, s[10:11] scale_offset
	global_load_u16 v21, v2, s[18:19] scale_offset
	s_wait_loadcnt 0x1
	s_wait_xcnt 0x0
	v_dual_add_nc_u32 v2, s28, v2 :: v_dual_lshlrev_b32 v3, 16, v3
	s_wait_loadcnt_dscnt 0x0
	s_delay_alu instid0(VALU_DEP_1) | instskip(NEXT) | instid1(VALU_DEP_1)
	v_dual_lshlrev_b32 v21, 16, v21 :: v_dual_mul_f32 v3, v1, v3
	v_bfe_u32 v22, v3, 16, 1
	v_cmp_o_f32_e32 vcc_lo, v3, v3
	s_delay_alu instid0(VALU_DEP_2) | instskip(NEXT) | instid1(VALU_DEP_1)
	v_add3_u32 v22, v3, v22, 0x7fff
	v_and_b32_e32 v22, 0xffff0000, v22
	s_delay_alu instid0(VALU_DEP_1) | instskip(SKIP_1) | instid1(VALU_DEP_2)
	v_dual_cndmask_b32 v3, 0x7fc00000, v22 :: v_dual_max_num_f32 v22, v20, v20
	v_cmp_le_u32_e32 vcc_lo, s23, v2
	v_mul_f32_e32 v3, v3, v21
	s_or_b32 s27, vcc_lo, s27
	s_delay_alu instid0(VALU_DEP_1) | instskip(SKIP_1) | instid1(VALU_DEP_2)
	v_bfe_u32 v21, v3, 16, 1
	v_cmp_u_f32_e64 s5, v3, v3
	v_add3_u32 v21, v3, v21, 0x7fff
	s_delay_alu instid0(VALU_DEP_1) | instskip(NEXT) | instid1(VALU_DEP_1)
	v_and_b32_e32 v21, 0xffff0000, v21
	v_max_num_f32_e64 v21, |v21|, |v21|
	s_delay_alu instid0(VALU_DEP_1) | instskip(NEXT) | instid1(VALU_DEP_1)
	v_max_num_f32_e32 v21, v22, v21
	v_cndmask_b32_e64 v20, v21, v20, s5
	s_and_not1_b32 exec_lo, exec_lo, s27
	s_cbranch_execnz .LBB15_17
; %bb.18:
	s_or_b32 exec_lo, exec_lo, s27
	v_mov_b64_e32 v[2:3], s[8:9]
.LBB15_19:
	s_or_b32 exec_lo, exec_lo, s7
	global_load_b32 v22, v[2:3], off
	v_mov_b32_e32 v23, 0
	v_or_b32_e32 v21, 0x80, v7
	s_wait_loadcnt 0x0
	v_cmp_lt_u32_e32 vcc_lo, s24, v22
	v_cndmask_b32_e64 v22, 18, 12, vcc_lo
	s_delay_alu instid0(VALU_DEP_1)
	v_add_nc_u64_e32 v[2:3], v[2:3], v[22:23]
	global_load_u16 v2, v[2:3], off
	s_wait_xcnt 0x0
	ds_bpermute_b32 v3, v9, v20
	s_wait_dscnt 0x0
	v_cmp_lt_f32_e32 vcc_lo, v20, v3
	v_cndmask_b32_e32 v3, v20, v3, vcc_lo
	s_wait_loadcnt 0x0
	v_sub_nc_u32_e64 v9, v2, v10 clamp
	s_delay_alu instid0(VALU_DEP_1)
	v_cmp_lt_u32_e32 vcc_lo, v8, v9
	v_cmp_lt_u32_e64 s10, v19, v9
	v_cndmask_b32_e32 v3, v20, v3, vcc_lo
	ds_bpermute_b32 v8, v11, v3
	s_wait_dscnt 0x0
	v_cmp_lt_f32_e64 s5, v3, v8
	s_delay_alu instid0(VALU_DEP_1) | instskip(SKIP_1) | instid1(VALU_DEP_1)
	v_cndmask_b32_e64 v8, v3, v8, s5
	v_cmp_lt_u32_e64 s5, v13, v9
	v_cndmask_b32_e64 v3, v3, v8, s5
	s_or_b32 s5, vcc_lo, s5
	ds_bpermute_b32 v8, v12, v3
	s_wait_dscnt 0x0
	v_cmp_lt_f32_e64 s7, v3, v8
	s_delay_alu instid0(VALU_DEP_1) | instskip(SKIP_1) | instid1(VALU_DEP_1)
	v_cndmask_b32_e64 v8, v3, v8, s7
	v_cmp_lt_u32_e64 s7, v15, v9
	v_cndmask_b32_e64 v3, v3, v8, s7
	s_or_b32 s5, s7, s5
	ds_bpermute_b32 v8, v14, v3
	s_wait_dscnt 0x0
	v_cmp_lt_f32_e64 s8, v3, v8
	s_delay_alu instid0(VALU_DEP_1) | instskip(SKIP_1) | instid1(VALU_DEP_1)
	v_cndmask_b32_e64 v8, v3, v8, s8
	v_cmp_lt_u32_e64 s8, v18, v9
	v_cndmask_b32_e64 v3, v3, v8, s8
	s_or_b32 s5, s8, s5
	;; [unrolled: 8-line block ×3, first 2 shown]
	ds_bpermute_b32 v8, v21, v3
	s_wait_dscnt 0x0
	v_cmp_lt_f32_e32 vcc_lo, v3, v8
	s_and_b32 vcc_lo, s10, vcc_lo
	v_cndmask_b32_e32 v3, v3, v8, vcc_lo
	s_or_b32 vcc_lo, s10, s5
	s_delay_alu instid0(VALU_DEP_1)
	v_cndmask_b32_e32 v3, v20, v3, vcc_lo
	s_and_saveexec_b32 s5, s3
; %bb.20:
	v_lshrrev_b32_e32 v8, 4, v0
	s_delay_alu instid0(VALU_DEP_1)
	v_and_b32_e32 v8, 60, v8
	ds_store_b32 v8, v3 offset:192
; %bb.21:
	s_or_b32 exec_lo, exec_lo, s5
	s_wait_dscnt 0x0
	s_barrier_signal -1
	s_barrier_wait -1
	s_and_saveexec_b32 s5, s4
	s_cbranch_execz .LBB15_23
; %bb.22:
	ds_load_b32 v3, v7 offset:192
	v_cmp_ne_u32_e32 vcc_lo, 15, v5
	v_cmp_gt_u32_e64 s3, 12, v5
	v_dual_add_nc_u32 v2, 63, v2 :: v_dual_add_nc_u32 v8, 1, v5
	v_add_co_ci_u32_e64 v7, null, 0, v4, vcc_lo
	v_cmp_gt_u32_e32 vcc_lo, 14, v5
	s_delay_alu instid0(VALU_DEP_4) | instskip(NEXT) | instid1(VALU_DEP_3)
	v_cndmask_b32_e64 v10, 0, 4, s3
	v_dual_lshrrev_b32 v2, 6, v2 :: v_dual_lshlrev_b32 v7, 2, v7
	v_cndmask_b32_e64 v9, 0, 2, vcc_lo
	s_delay_alu instid0(VALU_DEP_1) | instskip(NEXT) | instid1(VALU_DEP_4)
	v_add_lshl_u32 v9, v9, v4, 2
	v_add_lshl_u32 v4, v10, v4, 2
	s_wait_dscnt 0x0
	ds_bpermute_b32 v7, v7, v3
	s_wait_dscnt 0x0
	v_cmp_lt_f32_e32 vcc_lo, v3, v7
	v_cndmask_b32_e32 v7, v3, v7, vcc_lo
	v_cmp_lt_u32_e32 vcc_lo, v8, v2
	s_delay_alu instid0(VALU_DEP_2) | instskip(SKIP_4) | instid1(VALU_DEP_1)
	v_cndmask_b32_e32 v7, v3, v7, vcc_lo
	ds_bpermute_b32 v8, v9, v7
	v_add_nc_u32_e32 v9, 2, v5
	s_wait_dscnt 0x0
	v_cmp_lt_f32_e64 s3, v7, v8
	v_cndmask_b32_e64 v8, v7, v8, s3
	s_delay_alu instid0(VALU_DEP_3) | instskip(NEXT) | instid1(VALU_DEP_1)
	v_cmp_lt_u32_e64 s3, v9, v2
	v_dual_cndmask_b32 v7, v7, v8, s3 :: v_dual_add_nc_u32 v8, 4, v5
	v_add_nc_u32_e32 v5, 8, v5
	ds_bpermute_b32 v4, v4, v7
	s_wait_dscnt 0x0
	v_cmp_lt_f32_e64 s3, v7, v4
	s_delay_alu instid0(VALU_DEP_1) | instskip(SKIP_1) | instid1(VALU_DEP_1)
	v_cndmask_b32_e64 v4, v7, v4, s3
	v_cmp_lt_u32_e64 s3, v8, v2
	v_cndmask_b32_e64 v4, v7, v4, s3
	v_cmp_lt_u32_e64 s3, v5, v2
	ds_bpermute_b32 v6, v6, v4
	s_wait_dscnt 0x0
	v_cmp_lt_f32_e64 s4, v4, v6
	s_and_b32 s3, s3, s4
	s_delay_alu instid0(SALU_CYCLE_1) | instskip(NEXT) | instid1(VALU_DEP_1)
	v_cndmask_b32_e64 v2, v4, v6, s3
	v_cndmask_b32_e32 v3, v3, v2, vcc_lo
.LBB15_23:
	s_or_b32 exec_lo, exec_lo, s5
	s_and_saveexec_b32 s3, s6
	s_cbranch_execz .LBB15_27
; %bb.24:
	s_cmp_eq_u64 s[20:21], 0
	s_cbranch_scc1 .LBB15_26
; %bb.25:
	s_load_b32 s4, s[20:21], 0x0
	v_max_num_f32_e32 v2, v3, v3
	s_wait_kmcnt 0x0
	v_max_num_f32_e64 v3, s4, s4
	s_delay_alu instid0(VALU_DEP_1)
	v_min_num_f32_e32 v3, v2, v3
.LBB15_26:
	s_delay_alu instid0(VALU_DEP_1)
	v_div_scale_f32 v2, null, 0x43e00000, 0x43e00000, v3
	v_div_scale_f32 v6, vcc_lo, v3, 0x43e00000, v3
	s_lshl_b64 s[4:5], s[24:25], 2
	v_rcp_f32_e32 v4, v2
	s_add_nc_u64 s[4:5], s[14:15], s[4:5]
	v_nop
	s_delay_alu instid0(TRANS32_DEP_1) | instskip(NEXT) | instid1(VALU_DEP_1)
	v_fma_f32 v5, -v2, v4, 1.0
	v_fmac_f32_e32 v4, v5, v4
	s_delay_alu instid0(VALU_DEP_1) | instskip(NEXT) | instid1(VALU_DEP_1)
	v_mul_f32_e32 v5, v6, v4
	v_fma_f32 v7, -v2, v5, v6
	s_delay_alu instid0(VALU_DEP_1) | instskip(NEXT) | instid1(VALU_DEP_1)
	v_fmac_f32_e32 v5, v7, v4
	v_fma_f32 v2, -v2, v5, v6
	s_delay_alu instid0(VALU_DEP_1) | instskip(NEXT) | instid1(VALU_DEP_1)
	v_div_fmas_f32 v2, v2, v4, v5
	v_div_fixup_f32 v2, v2, 0x43e00000, v3
	s_delay_alu instid0(VALU_DEP_1)
	v_dual_mov_b32 v3, 0 :: v_dual_max_num_f32 v2, 0x36924925, v2
	ds_store_b32 v3, v2 offset:268
	global_store_b32 v3, v2, s[4:5]
.LBB15_27:
	s_wait_xcnt 0x0
	s_or_b32 exec_lo, exec_lo, s3
	s_wait_storecnt_dscnt 0x0
	s_barrier_signal -1
	s_barrier_wait -1
	s_and_saveexec_b32 s4, s2
	s_cbranch_execz .LBB15_36
; %bb.28:
	v_dual_mov_b32 v3, 0 :: v_dual_mov_b32 v2, v0
	s_load_b32 s5, s[0:1], 0x44
	s_ashr_i32 s3, s23, 31
	s_mov_b32 s2, s23
	ds_load_b32 v6, v3 offset:268
	s_mul_u64 s[2:3], s[2:3], s[24:25]
	s_mov_b32 s6, 0
	s_mov_b32 s7, 0x43e00000
	s_wait_kmcnt 0x0
	s_and_b32 s5, s5, 0xffff
	s_branch .LBB15_31
.LBB15_29:                              ;   in Loop: Header=BB15_31 Depth=1
	s_or_b32 exec_lo, exec_lo, s9
.LBB15_30:                              ;   in Loop: Header=BB15_31 Depth=1
	s_delay_alu instid0(SALU_CYCLE_1) | instskip(SKIP_2) | instid1(VALU_DEP_2)
	s_or_b32 exec_lo, exec_lo, s8
	v_dual_add_nc_u32 v2, s5, v2 :: v_dual_lshrrev_b32 v7, 24, v7
	v_add_nc_u64_e32 v[4:5], s[12:13], v[4:5]
	v_cmp_le_u32_e32 vcc_lo, s23, v2
	s_delay_alu instid0(VALU_DEP_3)
	v_and_or_b32 v7, 0x80, v7, v8
	s_or_b32 s6, vcc_lo, s6
	global_store_b8 v[4:5], v7, off
	s_wait_xcnt 0x0
	s_and_not1_b32 exec_lo, exec_lo, s6
	s_cbranch_execz .LBB15_36
.LBB15_31:                              ; =>This Inner Loop Header: Depth=1
	v_add_nc_u64_e32 v[4:5], s[2:3], v[2:3]
	s_mov_b32 s8, exec_lo
	s_delay_alu instid0(VALU_DEP_1)
	v_lshl_add_u64 v[8:9], v[4:5], 1, s[16:17]
	global_load_u16 v7, v[8:9], off
	global_load_u16 v10, v2, s[18:19] scale_offset
	s_wait_loadcnt 0x0
	s_wait_xcnt 0x1
	v_dual_lshlrev_b32 v7, 16, v7 :: v_dual_lshlrev_b32 v9, 16, v10
	s_delay_alu instid0(VALU_DEP_1) | instskip(NEXT) | instid1(VALU_DEP_1)
	v_mul_f32_e32 v7, v1, v7
	v_bfe_u32 v8, v7, 16, 1
	v_cmp_o_f32_e32 vcc_lo, v7, v7
	s_delay_alu instid0(VALU_DEP_2) | instskip(NEXT) | instid1(VALU_DEP_1)
	v_add3_u32 v8, v7, v8, 0x7fff
	v_and_b32_e32 v8, 0xffff0000, v8
	s_delay_alu instid0(VALU_DEP_1) | instskip(NEXT) | instid1(VALU_DEP_1)
	v_cndmask_b32_e32 v7, 0x7fc00000, v8, vcc_lo
	v_mul_f32_e32 v7, v7, v9
	s_delay_alu instid0(VALU_DEP_1) | instskip(SKIP_1) | instid1(VALU_DEP_2)
	v_bfe_u32 v8, v7, 16, 1
	v_cmp_o_f32_e32 vcc_lo, v7, v7
	v_add3_u32 v8, v7, v8, 0x7fff
	s_delay_alu instid0(VALU_DEP_1) | instskip(NEXT) | instid1(VALU_DEP_1)
	v_and_b32_e32 v8, 0xffff0000, v8
	v_cndmask_b32_e32 v7, 0x7fc00000, v8, vcc_lo
	s_wait_dscnt 0x0
	s_delay_alu instid0(VALU_DEP_1) | instskip(SKIP_1) | instid1(VALU_DEP_2)
	v_div_scale_f32 v8, null, v6, v6, v7
	v_div_scale_f32 v11, vcc_lo, v7, v6, v7
	v_rcp_f32_e32 v9, v8
	v_nop
	s_delay_alu instid0(TRANS32_DEP_1) | instskip(NEXT) | instid1(VALU_DEP_1)
	v_fma_f32 v10, -v8, v9, 1.0
	v_fmac_f32_e32 v9, v10, v9
	s_delay_alu instid0(VALU_DEP_1) | instskip(NEXT) | instid1(VALU_DEP_1)
	v_mul_f32_e32 v10, v11, v9
	v_fma_f32 v12, -v8, v10, v11
	s_delay_alu instid0(VALU_DEP_1) | instskip(NEXT) | instid1(VALU_DEP_1)
	v_fmac_f32_e32 v10, v12, v9
	v_fma_f32 v8, -v8, v10, v11
	s_delay_alu instid0(VALU_DEP_1) | instskip(NEXT) | instid1(VALU_DEP_1)
	v_div_fmas_f32 v8, v8, v9, v10
	v_div_fixup_f32 v7, v8, v6, v7
	v_mov_b32_e32 v8, 0x7f
	s_delay_alu instid0(VALU_DEP_2) | instskip(NEXT) | instid1(VALU_DEP_1)
	v_minmax_num_f32 v7, v7, s7, 0xc3e00000
	v_and_b32_e32 v9, 0x7fffffff, v7
	s_wait_xcnt 0x0
	s_delay_alu instid0(VALU_DEP_1)
	v_cmpx_gt_u32_e32 0x43f00000, v9
	s_cbranch_execz .LBB15_30
; %bb.32:                               ;   in Loop: Header=BB15_31 Depth=1
	s_mov_b32 s9, exec_lo
                                        ; implicit-def: $vgpr8
	v_cmpx_lt_u32_e32 0x3c7fffff, v9
	s_xor_b32 s9, exec_lo, s9
; %bb.33:                               ;   in Loop: Header=BB15_31 Depth=1
	v_bfe_u32 v8, v7, 20, 1
	s_delay_alu instid0(VALU_DEP_1) | instskip(NEXT) | instid1(VALU_DEP_1)
	v_add3_u32 v8, v7, v8, 0x407ffff
	v_lshrrev_b32_e32 v8, 20, v8
; %bb.34:                               ;   in Loop: Header=BB15_31 Depth=1
	s_and_not1_saveexec_b32 s9, s9
	s_cbranch_execz .LBB15_29
; %bb.35:                               ;   in Loop: Header=BB15_31 Depth=1
	v_add_f32_e64 v8, 0x46800000, |v7|
	s_branch .LBB15_29
.LBB15_36:
	s_or_b32 exec_lo, exec_lo, s4
	s_branch .LBB15_177
.LBB15_37:
	s_cbranch_execz .LBB15_177
; %bb.38:
	s_load_b32 s3, s[0:1], 0x38
	s_bfe_u32 s2, ttmp6, 0x4000c
	s_and_b32 s4, ttmp6, 15
	s_add_co_i32 s2, s2, 1
	s_mov_b32 s27, 0
	s_mul_i32 s2, ttmp9, s2
	v_mov_b32_e32 v2, 0
	s_add_co_i32 s4, s4, s2
	s_cmp_eq_u32 s26, 0
	s_wait_xcnt 0x0
	s_add_nc_u64 s[0:1], s[0:1], 56
	s_cselect_b32 s26, ttmp9, s4
	s_ashr_i32 s5, s23, 31
	s_mov_b32 s4, s23
	s_ashr_i32 s11, s23, 2
	s_mul_u64 s[24:25], s[4:5], s[26:27]
	v_cmp_gt_u32_e64 s2, s11, v0
	s_lshl_b64 s[4:5], s[24:25], 1
	s_delay_alu instid0(SALU_CYCLE_1)
	s_add_nc_u64 s[16:17], s[16:17], s[4:5]
	s_and_saveexec_b32 s4, s2
	s_cbranch_execz .LBB15_48
; %bb.39:
	s_wait_kmcnt 0x0
	s_cmp_lt_u32 s26, s3
	s_mov_b32 s7, s27
	s_cselect_b32 s6, 12, 18
	v_dual_mov_b32 v2, 0 :: v_dual_mov_b32 v1, v0
	s_add_nc_u64 s[6:7], s[0:1], s[6:7]
	s_mov_b32 s8, s27
	s_load_u16 s5, s[6:7], 0x0
                                        ; implicit-def: $sgpr10
	s_wait_kmcnt 0x0
	s_lshl_b32 s6, s5, 1
	s_mul_i32 s7, s5, 3
	s_add_co_i32 s9, s5, s5
	s_branch .LBB15_43
.LBB15_40:                              ;   in Loop: Header=BB15_43 Depth=1
	s_or_b32 exec_lo, exec_lo, s30
	s_delay_alu instid0(SALU_CYCLE_1)
	s_or_not1_b32 s30, s31, exec_lo
.LBB15_41:                              ;   in Loop: Header=BB15_43 Depth=1
	s_or_b32 exec_lo, exec_lo, s29
	s_delay_alu instid0(SALU_CYCLE_1) | instskip(SKIP_1) | instid1(SALU_CYCLE_1)
	s_and_not1_b32 s10, s10, exec_lo
	s_and_b32 s29, s30, exec_lo
	s_or_b32 s10, s10, s29
.LBB15_42:                              ;   in Loop: Header=BB15_43 Depth=1
	s_or_b32 exec_lo, exec_lo, s28
	s_delay_alu instid0(SALU_CYCLE_1) | instskip(NEXT) | instid1(SALU_CYCLE_1)
	s_and_b32 s28, exec_lo, s10
	s_or_b32 s8, s28, s8
	s_delay_alu instid0(SALU_CYCLE_1)
	s_and_not1_b32 exec_lo, exec_lo, s8
	s_cbranch_execz .LBB15_47
.LBB15_43:                              ; =>This Inner Loop Header: Depth=1
	global_load_b64 v[4:5], v1, s[16:17] scale_offset
	s_or_b32 s10, s10, exec_lo
	s_mov_b32 s28, exec_lo
	s_wait_loadcnt 0x0
	v_fma_mix_f32_bf16 v2, v4, v4, v2 op_sel_hi:[1,1,0]
	v_alignbit_b32 v3, v5, v4, 16
	s_delay_alu instid0(VALU_DEP_2) | instskip(NEXT) | instid1(VALU_DEP_1)
	v_fma_mix_f32_bf16 v2, v4, v4, v2 op_sel:[1,1,0] op_sel_hi:[1,1,0]
	v_fma_mix_f32_bf16 v2, v3, v3, v2 op_sel:[1,1,0] op_sel_hi:[1,1,0]
	v_add_nc_u32_e32 v3, s5, v1
	s_delay_alu instid0(VALU_DEP_2) | instskip(SKIP_1) | instid1(VALU_DEP_2)
	v_fma_mix_f32_bf16 v2, v5, v5, v2 op_sel:[1,1,0] op_sel_hi:[1,1,0]
	s_wait_xcnt 0x0
	v_cmpx_gt_u32_e64 s11, v3
	s_cbranch_execz .LBB15_42
; %bb.44:                               ;   in Loop: Header=BB15_43 Depth=1
	global_load_b64 v[4:5], v3, s[16:17] scale_offset
	s_mov_b32 s30, -1
	s_mov_b32 s29, exec_lo
	s_wait_loadcnt 0x0
	v_fma_mix_f32_bf16 v2, v4, v4, v2 op_sel_hi:[1,1,0]
	v_alignbit_b32 v6, v5, v4, 16
	s_delay_alu instid0(VALU_DEP_2) | instskip(SKIP_1) | instid1(VALU_DEP_2)
	v_fma_mix_f32_bf16 v2, v4, v4, v2 op_sel:[1,1,0] op_sel_hi:[1,1,0]
	v_add_nc_u32_e32 v4, s6, v1
	v_fma_mix_f32_bf16 v2, v6, v6, v2 op_sel:[1,1,0] op_sel_hi:[1,1,0]
	s_delay_alu instid0(VALU_DEP_1) | instskip(SKIP_1) | instid1(VALU_DEP_3)
	v_fma_mix_f32_bf16 v2, v5, v5, v2 op_sel:[1,1,0] op_sel_hi:[1,1,0]
	s_wait_xcnt 0x0
	v_cmpx_gt_u32_e64 s11, v4
	s_cbranch_execz .LBB15_41
; %bb.45:                               ;   in Loop: Header=BB15_43 Depth=1
	global_load_b64 v[4:5], v4, s[16:17] scale_offset
	s_mov_b32 s31, -1
	s_mov_b32 s30, exec_lo
	s_wait_loadcnt 0x0
	v_fma_mix_f32_bf16 v2, v4, v4, v2 op_sel_hi:[1,1,0]
	v_alignbit_b32 v6, v5, v4, 16
	s_delay_alu instid0(VALU_DEP_2) | instskip(SKIP_2) | instid1(VALU_DEP_2)
	v_fma_mix_f32_bf16 v2, v4, v4, v2 op_sel:[1,1,0] op_sel_hi:[1,1,0]
	s_wait_xcnt 0x0
	v_add_nc_u32_e32 v4, s7, v1
                                        ; implicit-def: $vgpr1
	v_fma_mix_f32_bf16 v2, v6, v6, v2 op_sel:[1,1,0] op_sel_hi:[1,1,0]
	s_delay_alu instid0(VALU_DEP_1) | instskip(NEXT) | instid1(VALU_DEP_3)
	v_fma_mix_f32_bf16 v2, v5, v5, v2 op_sel:[1,1,0] op_sel_hi:[1,1,0]
	v_cmpx_gt_u32_e64 s11, v4
	s_xor_b32 s30, exec_lo, s30
	s_cbranch_execz .LBB15_40
; %bb.46:                               ;   in Loop: Header=BB15_43 Depth=1
	global_load_b64 v[4:5], v4, s[16:17] scale_offset
	s_wait_loadcnt 0x0
	v_fma_mix_f32_bf16 v1, v4, v4, v2 op_sel_hi:[1,1,0]
	v_alignbit_b32 v2, v5, v4, 16
	s_wait_xcnt 0x0
	s_delay_alu instid0(VALU_DEP_2) | instskip(SKIP_1) | instid1(VALU_DEP_2)
	v_fma_mix_f32_bf16 v4, v4, v4, v1 op_sel:[1,1,0] op_sel_hi:[1,1,0]
	v_add3_u32 v1, s9, s5, v3
	v_fma_mix_f32_bf16 v2, v2, v2, v4 op_sel:[1,1,0] op_sel_hi:[1,1,0]
	s_delay_alu instid0(VALU_DEP_2) | instskip(NEXT) | instid1(VALU_DEP_2)
	v_cmp_le_u32_e32 vcc_lo, s11, v1
	v_fma_mix_f32_bf16 v2, v5, v5, v2 op_sel:[1,1,0] op_sel_hi:[1,1,0]
	s_or_not1_b32 s31, vcc_lo, exec_lo
	s_branch .LBB15_40
.LBB15_47:
	s_or_b32 exec_lo, exec_lo, s8
.LBB15_48:
	s_delay_alu instid0(SALU_CYCLE_1)
	s_or_b32 exec_lo, exec_lo, s4
	v_mbcnt_lo_u32_b32 v1, -1, 0
	s_wait_kmcnt 0x0
	s_cmp_lt_u32 s26, s3
	s_mov_b32 s5, 0
	s_cselect_b32 s4, 12, 18
	v_and_b32_e32 v5, 0x3c0, v0
	v_cmp_ne_u32_e32 vcc_lo, 63, v1
	s_add_nc_u64 s[0:1], s[0:1], s[4:5]
	v_cmp_eq_u32_e64 s6, 0, v1
	s_load_u16 s28, s[0:1], 0x0
	v_add_nc_u32_e32 v6, 1, v1
	v_add_co_ci_u32_e64 v3, null, 0, v1, vcc_lo
	v_cmp_gt_u32_e32 vcc_lo, 62, v1
	s_delay_alu instid0(VALU_DEP_2)
	v_lshlrev_b32_e32 v3, 2, v3
	v_cndmask_b32_e64 v7, 0, 2, vcc_lo
	v_cmp_gt_u32_e32 vcc_lo, 60, v1
	ds_bpermute_b32 v4, v3, v2
	s_wait_kmcnt 0x0
	v_sub_nc_u32_e64 v8, s28, v5 clamp
	s_delay_alu instid0(VALU_DEP_1)
	v_cmp_lt_u32_e64 s0, v6, v8
	v_cndmask_b32_e64 v6, 0, 4, vcc_lo
	v_cmp_gt_u32_e32 vcc_lo, 56, v1
	s_wait_dscnt 0x0
	v_add_f32_e32 v5, v2, v4
	v_add_lshl_u32 v4, v7, v1, 2
	v_add_nc_u32_e32 v7, 2, v1
	s_delay_alu instid0(VALU_DEP_3) | instskip(NEXT) | instid1(VALU_DEP_2)
	v_cndmask_b32_e64 v2, v2, v5, s0
	v_cmp_lt_u32_e64 s1, v7, v8
	v_cndmask_b32_e64 v7, 0, 8, vcc_lo
	v_cmp_gt_u32_e32 vcc_lo, 48, v1
	ds_bpermute_b32 v5, v4, v2
	s_wait_dscnt 0x0
	v_add_f32_e32 v9, v2, v5
	v_add_lshl_u32 v5, v6, v1, 2
	s_delay_alu instid0(VALU_DEP_2) | instskip(SKIP_4) | instid1(VALU_DEP_2)
	v_cndmask_b32_e64 v2, v2, v9, s1
	ds_bpermute_b32 v6, v5, v2
	s_wait_dscnt 0x0
	v_dual_add_f32 v10, v2, v6 :: v_dual_add_nc_u32 v9, 4, v1
	v_add_lshl_u32 v6, v7, v1, 2
	v_cmp_lt_u32_e64 s3, v9, v8
	v_cndmask_b32_e64 v9, 0, 16, vcc_lo
	s_delay_alu instid0(VALU_DEP_2) | instskip(SKIP_3) | instid1(VALU_DEP_1)
	v_cndmask_b32_e64 v2, v2, v10, s3
	ds_bpermute_b32 v7, v6, v2
	s_wait_dscnt 0x0
	v_dual_add_f32 v11, v2, v7 :: v_dual_add_nc_u32 v10, 8, v1
	v_cmp_lt_u32_e64 s4, v10, v8
	v_add_lshl_u32 v7, v9, v1, 2
	s_delay_alu instid0(VALU_DEP_2) | instskip(NEXT) | instid1(VALU_DEP_1)
	v_dual_add_nc_u32 v10, 16, v1 :: v_dual_cndmask_b32 v9, v2, v11, s4
	v_cmp_lt_u32_e64 s5, v10, v8
	ds_bpermute_b32 v2, v7, v9
	s_wait_dscnt 0x0
	v_dual_add_f32 v11, v9, v2 :: v_dual_lshlrev_b32 v2, 2, v1
	s_delay_alu instid0(VALU_DEP_1) | instskip(SKIP_3) | instid1(VALU_DEP_1)
	v_cndmask_b32_e64 v9, v9, v11, s5
	ds_bpermute_b32 v10, v2, v9 offset:128
	s_wait_dscnt 0x0
	v_dual_add_f32 v10, v9, v10 :: v_dual_bitop2_b32 v11, 32, v1 bitop3:0x54
	v_cmp_lt_u32_e64 s8, v11, v8
	s_delay_alu instid0(VALU_DEP_1)
	v_cndmask_b32_e64 v8, v9, v10, s8
	s_and_saveexec_b32 s7, s6
; %bb.49:
	v_lshrrev_b32_e32 v9, 4, v0
	s_delay_alu instid0(VALU_DEP_1)
	v_and_b32_e32 v9, 60, v9
	ds_store_b32 v9, v8
; %bb.50:
	s_or_b32 exec_lo, exec_lo, s7
	v_cmp_gt_u32_e64 s7, 16, v0
	s_wait_storecnt_dscnt 0x0
	s_barrier_signal -1
	s_barrier_wait -1
	s_and_saveexec_b32 s10, s7
	s_cbranch_execz .LBB15_52
; %bb.51:
	ds_load_b32 v8, v2
	v_and_b32_e32 v9, 15, v1
	s_add_co_i32 s9, s28, 63
	s_delay_alu instid0(SALU_CYCLE_1) | instskip(NEXT) | instid1(VALU_DEP_1)
	s_lshr_b32 s29, s9, 6
	v_cmp_ne_u32_e32 vcc_lo, 15, v9
	v_add_co_ci_u32_e64 v10, null, 0, v1, vcc_lo
	s_delay_alu instid0(VALU_DEP_1)
	v_lshlrev_b32_e32 v10, 2, v10
	v_cmp_gt_u32_e32 vcc_lo, 14, v9
	v_cmp_gt_u32_e64 s9, 12, v9
	v_add_nc_u32_e32 v13, 2, v9
	s_wait_dscnt 0x0
	ds_bpermute_b32 v10, v10, v8
	v_add_nc_u32_e32 v12, 1, v9
	v_cndmask_b32_e64 v11, 0, 2, vcc_lo
	s_delay_alu instid0(VALU_DEP_1)
	v_add_lshl_u32 v11, v11, v1, 2
	s_wait_dscnt 0x0
	v_add_f32_e32 v10, v8, v10
	v_cmp_gt_u32_e32 vcc_lo, s29, v12
	v_cndmask_b32_e64 v12, 0, 4, s9
	v_cmp_gt_u32_e64 s9, s29, v13
	s_delay_alu instid0(VALU_DEP_4) | instskip(NEXT) | instid1(VALU_DEP_3)
	v_cndmask_b32_e32 v10, v8, v10, vcc_lo
	v_add_lshl_u32 v12, v12, v1, 2
	ds_bpermute_b32 v11, v11, v10
	s_wait_dscnt 0x0
	v_add_f32_e32 v11, v10, v11
	s_delay_alu instid0(VALU_DEP_1) | instskip(SKIP_2) | instid1(VALU_DEP_1)
	v_cndmask_b32_e64 v10, v10, v11, s9
	ds_bpermute_b32 v11, v12, v10
	v_dual_add_nc_u32 v12, 4, v9 :: v_dual_add_nc_u32 v9, 8, v9
	v_cmp_gt_u32_e64 s9, s29, v12
	s_wait_dscnt 0x0
	v_add_f32_e32 v11, v10, v11
	s_delay_alu instid0(VALU_DEP_1) | instskip(SKIP_4) | instid1(VALU_DEP_1)
	v_dual_cndmask_b32 v10, v10, v11, s9 :: v_dual_bitop2_b32 v11, 32, v2 bitop3:0x54
	v_cmp_gt_u32_e64 s9, s29, v9
	ds_bpermute_b32 v11, v11, v10
	s_wait_dscnt 0x0
	v_add_f32_e32 v11, v10, v11
	v_cndmask_b32_e64 v9, v10, v11, s9
	s_delay_alu instid0(VALU_DEP_1)
	v_cndmask_b32_e32 v8, v8, v9, vcc_lo
.LBB15_52:
	s_or_b32 exec_lo, exec_lo, s10
	v_cmp_eq_u32_e64 s9, 0, v0
	s_and_saveexec_b32 s10, s9
	s_cbranch_execz .LBB15_54
; %bb.53:
	s_cvt_f32_i32 s23, s23
	s_delay_alu instid0(SALU_CYCLE_3) | instskip(SKIP_1) | instid1(VALU_DEP_2)
	v_div_scale_f32 v9, null, s23, s23, v8
	v_div_scale_f32 v12, vcc_lo, v8, s23, v8
	v_rcp_f32_e32 v10, v9
	v_nop
	s_delay_alu instid0(TRANS32_DEP_1) | instskip(NEXT) | instid1(VALU_DEP_1)
	v_fma_f32 v11, -v9, v10, 1.0
	v_fmac_f32_e32 v10, v11, v10
	s_delay_alu instid0(VALU_DEP_1) | instskip(NEXT) | instid1(VALU_DEP_1)
	v_mul_f32_e32 v11, v12, v10
	v_fma_f32 v13, -v9, v11, v12
	s_delay_alu instid0(VALU_DEP_1) | instskip(NEXT) | instid1(VALU_DEP_1)
	v_fmac_f32_e32 v11, v13, v10
	v_fma_f32 v9, -v9, v11, v12
	s_delay_alu instid0(VALU_DEP_1) | instskip(NEXT) | instid1(VALU_DEP_1)
	v_div_fmas_f32 v9, v9, v10, v11
	v_div_fixup_f32 v8, v9, s23, v8
	s_delay_alu instid0(VALU_DEP_1) | instskip(NEXT) | instid1(VALU_DEP_1)
	v_add_f32_e32 v8, s22, v8
	v_mul_f32_e32 v9, 0x4b800000, v8
	v_cmp_gt_f32_e32 vcc_lo, 0x800000, v8
	s_delay_alu instid0(VALU_DEP_2) | instskip(NEXT) | instid1(VALU_DEP_1)
	v_cndmask_b32_e32 v8, v8, v9, vcc_lo
	v_rsq_f32_e32 v8, v8
	v_nop
	s_delay_alu instid0(TRANS32_DEP_1) | instskip(NEXT) | instid1(VALU_DEP_1)
	v_mul_f32_e32 v9, 0x45800000, v8
	v_dual_cndmask_b32 v8, v8, v9 :: v_dual_mov_b32 v9, 0
	ds_store_b32 v9, v8 offset:256
.LBB15_54:
	s_or_b32 exec_lo, exec_lo, s10
	v_mov_b32_e32 v8, 0
	s_wait_dscnt 0x0
	s_barrier_signal -1
	s_barrier_wait -1
	ds_load_b32 v10, v8 offset:256
	s_and_saveexec_b32 s22, s2
	s_cbranch_execz .LBB15_64
; %bb.55:
	v_dual_mov_b32 v8, 0 :: v_dual_mov_b32 v9, v0
	s_lshl_b32 s23, s28, 1
	s_mul_i32 s30, s28, 3
	s_mov_b32 s29, 0
	s_add_co_i32 s31, s28, s28
                                        ; implicit-def: $sgpr33
	s_branch .LBB15_59
.LBB15_56:                              ;   in Loop: Header=BB15_59 Depth=1
	s_or_b32 exec_lo, exec_lo, s36
	s_delay_alu instid0(SALU_CYCLE_1)
	s_or_not1_b32 s10, s10, exec_lo
.LBB15_57:                              ;   in Loop: Header=BB15_59 Depth=1
	s_or_b32 exec_lo, exec_lo, s35
	s_delay_alu instid0(SALU_CYCLE_1) | instskip(SKIP_1) | instid1(SALU_CYCLE_1)
	s_and_not1_b32 s33, s33, exec_lo
	s_and_b32 s10, s10, exec_lo
	s_or_b32 s33, s33, s10
.LBB15_58:                              ;   in Loop: Header=BB15_59 Depth=1
	s_or_b32 exec_lo, exec_lo, s34
	s_delay_alu instid0(SALU_CYCLE_1) | instskip(NEXT) | instid1(SALU_CYCLE_1)
	s_and_b32 s10, exec_lo, s33
	s_or_b32 s29, s10, s29
	s_delay_alu instid0(SALU_CYCLE_1)
	s_and_not1_b32 exec_lo, exec_lo, s29
	s_cbranch_execz .LBB15_63
.LBB15_59:                              ; =>This Inner Loop Header: Depth=1
	s_clause 0x1
	global_load_b64 v[12:13], v9, s[16:17] scale_offset
	global_load_b64 v[14:15], v9, s[18:19] scale_offset
	s_or_b32 s33, s33, exec_lo
	s_mov_b32 s34, exec_lo
	s_wait_loadcnt 0x1
	v_and_b32_e32 v17, 0xffff0000, v12
	v_lshlrev_b32_e32 v11, 16, v12
	v_alignbit_b32 v12, v13, v12, 16
	v_and_b32_e32 v13, 0xffff0000, v13
	s_wait_loadcnt_dscnt 0x0
	v_dual_mul_f32 v17, v10, v17 :: v_dual_lshlrev_b32 v18, 16, v14
	v_mul_f32_e32 v11, v10, v11
	v_and_b32_e32 v12, 0xffff0000, v12
	v_mul_f32_e32 v13, v10, v13
	s_delay_alu instid0(VALU_DEP_4) | instskip(NEXT) | instid1(VALU_DEP_4)
	v_bfe_u32 v19, v17, 16, 1
	v_bfe_u32 v16, v11, 16, 1
	v_cmp_o_f32_e32 vcc_lo, v11, v11
	v_mul_f32_e32 v12, v10, v12
	s_delay_alu instid0(VALU_DEP_3) | instskip(NEXT) | instid1(VALU_DEP_2)
	v_add3_u32 v16, v11, v16, 0x7fff
	v_bfe_u32 v21, v12, 16, 1
	s_delay_alu instid0(VALU_DEP_2) | instskip(NEXT) | instid1(VALU_DEP_1)
	v_and_b32_e32 v16, 0xffff0000, v16
	v_cndmask_b32_e32 v11, 0x7fc00000, v16, vcc_lo
	v_add3_u32 v16, v17, v19, 0x7fff
	v_cmp_o_f32_e32 vcc_lo, v17, v17
	v_and_b32_e32 v19, 0xffff0000, v14
	v_alignbit_b32 v14, v15, v14, 16
	s_delay_alu instid0(VALU_DEP_4) | instskip(NEXT) | instid1(VALU_DEP_2)
	v_and_b32_e32 v16, 0xffff0000, v16
	v_and_b32_e32 v14, 0xffff0000, v14
	s_delay_alu instid0(VALU_DEP_2) | instskip(SKIP_1) | instid1(VALU_DEP_2)
	v_cndmask_b32_e32 v16, 0x7fc00000, v16, vcc_lo
	v_cmp_o_f32_e32 vcc_lo, v12, v12
	v_dual_mul_f32 v16, v16, v19 :: v_dual_mul_f32 v11, v11, v18
	v_max_num_f32_e32 v18, v8, v8
	s_delay_alu instid0(VALU_DEP_2) | instskip(NEXT) | instid1(VALU_DEP_1)
	v_bfe_u32 v20, v11, 16, 1
	v_add3_u32 v17, v11, v20, 0x7fff
	v_add3_u32 v20, v12, v21, 0x7fff
	v_bfe_u32 v21, v13, 16, 1
	s_delay_alu instid0(VALU_DEP_3) | instskip(NEXT) | instid1(VALU_DEP_3)
	v_and_b32_e32 v17, 0xffff0000, v17
	v_and_b32_e32 v19, 0xffff0000, v20
	v_bfe_u32 v20, v16, 16, 1
	s_delay_alu instid0(VALU_DEP_3) | instskip(NEXT) | instid1(VALU_DEP_3)
	v_max_num_f32_e64 v17, |v17|, |v17|
	v_cndmask_b32_e32 v12, 0x7fc00000, v19, vcc_lo
	s_delay_alu instid0(VALU_DEP_3)
	v_add3_u32 v19, v16, v20, 0x7fff
	v_cmp_u_f32_e32 vcc_lo, v11, v11
	v_and_b32_e32 v11, 0xffff0000, v15
	v_max_num_f32_e32 v17, v18, v17
	v_add3_u32 v18, v13, v21, 0x7fff
	v_mul_f32_e32 v12, v12, v14
	v_and_b32_e32 v14, 0xffff0000, v19
	s_delay_alu instid0(VALU_DEP_4) | instskip(NEXT) | instid1(VALU_DEP_4)
	v_cndmask_b32_e32 v8, v17, v8, vcc_lo
	v_and_b32_e32 v15, 0xffff0000, v18
	s_delay_alu instid0(VALU_DEP_4) | instskip(SKIP_2) | instid1(VALU_DEP_4)
	v_bfe_u32 v17, v12, 16, 1
	v_cmp_o_f32_e32 vcc_lo, v13, v13
	v_max_num_f32_e64 v14, |v14|, |v14|
	v_dual_max_num_f32 v18, v8, v8 :: v_dual_cndmask_b32 v13, 0x7fc00000, v15
	s_delay_alu instid0(VALU_DEP_4) | instskip(NEXT) | instid1(VALU_DEP_2)
	v_add3_u32 v15, v12, v17, 0x7fff
	v_max_num_f32_e32 v14, v18, v14
	v_cmp_u_f32_e32 vcc_lo, v16, v16
	s_delay_alu instid0(VALU_DEP_4) | instskip(NEXT) | instid1(VALU_DEP_4)
	v_mul_f32_e32 v13, v13, v11
	v_and_b32_e32 v11, 0xffff0000, v15
	s_delay_alu instid0(VALU_DEP_1) | instskip(SKIP_1) | instid1(VALU_DEP_4)
	v_max_num_f32_e64 v11, |v11|, |v11|
	v_cndmask_b32_e32 v8, v14, v8, vcc_lo
	v_bfe_u32 v14, v13, 16, 1
	v_cmp_u_f32_e32 vcc_lo, v12, v12
	s_delay_alu instid0(VALU_DEP_3) | instskip(NEXT) | instid1(VALU_DEP_3)
	v_max_num_f32_e32 v15, v8, v8
	v_add3_u32 v14, v13, v14, 0x7fff
	s_delay_alu instid0(VALU_DEP_2) | instskip(NEXT) | instid1(VALU_DEP_2)
	v_max_num_f32_e32 v11, v15, v11
	v_and_b32_e32 v14, 0xffff0000, v14
	s_delay_alu instid0(VALU_DEP_2) | instskip(NEXT) | instid1(VALU_DEP_2)
	v_cndmask_b32_e32 v8, v11, v8, vcc_lo
	v_max_num_f32_e64 v11, |v14|, |v14|
	v_cmp_u_f32_e32 vcc_lo, v13, v13
	s_delay_alu instid0(VALU_DEP_3) | instskip(NEXT) | instid1(VALU_DEP_1)
	v_max_num_f32_e32 v12, v8, v8
	v_dual_max_num_f32 v12, v12, v11 :: v_dual_add_nc_u32 v11, s28, v9
	s_delay_alu instid0(VALU_DEP_1) | instskip(NEXT) | instid1(VALU_DEP_2)
	v_cndmask_b32_e32 v8, v12, v8, vcc_lo
	v_cmpx_gt_u32_e64 s11, v11
	s_cbranch_execz .LBB15_58
; %bb.60:                               ;   in Loop: Header=BB15_59 Depth=1
	s_clause 0x1
	global_load_b64 v[12:13], v11, s[16:17] scale_offset
	global_load_b64 v[14:15], v11, s[18:19] scale_offset
	s_mov_b32 s10, -1
	s_mov_b32 s35, exec_lo
	s_wait_loadcnt 0x1
	v_and_b32_e32 v18, 0xffff0000, v12
	v_lshlrev_b32_e32 v16, 16, v12
	v_alignbit_b32 v12, v13, v12, 16
	v_and_b32_e32 v13, 0xffff0000, v13
	s_wait_loadcnt 0x0
	v_lshlrev_b32_e32 v19, 16, v14
	v_dual_mul_f32 v18, v10, v18 :: v_dual_mul_f32 v16, v10, v16
	v_and_b32_e32 v12, 0xffff0000, v12
	v_mul_f32_e32 v13, v10, v13
	s_delay_alu instid0(VALU_DEP_3) | instskip(NEXT) | instid1(VALU_DEP_4)
	v_bfe_u32 v20, v18, 16, 1
	v_bfe_u32 v17, v16, 16, 1
	v_cmp_o_f32_e32 vcc_lo, v16, v16
	v_mul_f32_e32 v12, v10, v12
	s_delay_alu instid0(VALU_DEP_3) | instskip(NEXT) | instid1(VALU_DEP_2)
	v_add3_u32 v17, v16, v17, 0x7fff
	v_bfe_u32 v22, v12, 16, 1
	s_delay_alu instid0(VALU_DEP_2) | instskip(NEXT) | instid1(VALU_DEP_1)
	v_and_b32_e32 v17, 0xffff0000, v17
	v_cndmask_b32_e32 v16, 0x7fc00000, v17, vcc_lo
	v_add3_u32 v17, v18, v20, 0x7fff
	v_cmp_o_f32_e32 vcc_lo, v18, v18
	v_and_b32_e32 v20, 0xffff0000, v14
	v_alignbit_b32 v14, v15, v14, 16
	v_mul_f32_e32 v16, v16, v19
	v_and_b32_e32 v17, 0xffff0000, v17
	v_max_num_f32_e32 v19, v8, v8
	v_and_b32_e32 v15, 0xffff0000, v15
	v_and_b32_e32 v14, 0xffff0000, v14
	v_bfe_u32 v21, v16, 16, 1
	s_delay_alu instid0(VALU_DEP_1) | instskip(SKIP_2) | instid1(VALU_DEP_3)
	v_add3_u32 v18, v16, v21, 0x7fff
	v_add3_u32 v21, v12, v22, 0x7fff
	v_bfe_u32 v22, v13, 16, 1
	v_and_b32_e32 v18, 0xffff0000, v18
	s_delay_alu instid0(VALU_DEP_1) | instskip(SKIP_2) | instid1(VALU_DEP_2)
	v_max_num_f32_e64 v18, |v18|, |v18|
	v_cndmask_b32_e32 v17, 0x7fc00000, v17, vcc_lo
	v_cmp_o_f32_e32 vcc_lo, v12, v12
	v_dual_max_num_f32 v18, v19, v18 :: v_dual_mul_f32 v17, v17, v20
	v_and_b32_e32 v20, 0xffff0000, v21
	v_add3_u32 v19, v13, v22, 0x7fff
	s_delay_alu instid0(VALU_DEP_3) | instskip(NEXT) | instid1(VALU_DEP_3)
	v_bfe_u32 v21, v17, 16, 1
	v_cndmask_b32_e32 v12, 0x7fc00000, v20, vcc_lo
	v_cmp_u_f32_e32 vcc_lo, v16, v16
	s_delay_alu instid0(VALU_DEP_4) | instskip(NEXT) | instid1(VALU_DEP_4)
	v_and_b32_e32 v16, 0xffff0000, v19
	v_add3_u32 v20, v17, v21, 0x7fff
	v_cndmask_b32_e32 v8, v18, v8, vcc_lo
	v_cmp_o_f32_e32 vcc_lo, v13, v13
	s_delay_alu instid0(VALU_DEP_4) | instskip(SKIP_1) | instid1(VALU_DEP_2)
	v_cndmask_b32_e32 v13, 0x7fc00000, v16, vcc_lo
	v_cmp_u_f32_e32 vcc_lo, v17, v17
	v_dual_max_num_f32 v19, v8, v8 :: v_dual_mul_f32 v13, v13, v15
	v_mul_f32_e32 v12, v12, v14
	v_and_b32_e32 v14, 0xffff0000, v20
	s_delay_alu instid0(VALU_DEP_1) | instskip(NEXT) | instid1(VALU_DEP_1)
	v_max_num_f32_e64 v14, |v14|, |v14|
	v_max_num_f32_e32 v14, v19, v14
	s_delay_alu instid0(VALU_DEP_4) | instskip(NEXT) | instid1(VALU_DEP_2)
	v_bfe_u32 v18, v12, 16, 1
	v_cndmask_b32_e32 v8, v14, v8, vcc_lo
	s_delay_alu instid0(VALU_DEP_2) | instskip(SKIP_2) | instid1(VALU_DEP_3)
	v_add3_u32 v16, v12, v18, 0x7fff
	v_bfe_u32 v14, v13, 16, 1
	v_cmp_u_f32_e32 vcc_lo, v12, v12
	v_and_b32_e32 v15, 0xffff0000, v16
	v_max_num_f32_e32 v16, v8, v8
	s_delay_alu instid0(VALU_DEP_4) | instskip(NEXT) | instid1(VALU_DEP_3)
	v_add3_u32 v14, v13, v14, 0x7fff
	v_max_num_f32_e64 v15, |v15|, |v15|
	s_delay_alu instid0(VALU_DEP_2) | instskip(NEXT) | instid1(VALU_DEP_2)
	v_and_b32_e32 v14, 0xffff0000, v14
	v_max_num_f32_e32 v15, v16, v15
	s_delay_alu instid0(VALU_DEP_2) | instskip(NEXT) | instid1(VALU_DEP_2)
	v_max_num_f32_e64 v12, |v14|, |v14|
	v_cndmask_b32_e32 v8, v15, v8, vcc_lo
	v_cmp_u_f32_e32 vcc_lo, v13, v13
	s_delay_alu instid0(VALU_DEP_2) | instskip(NEXT) | instid1(VALU_DEP_1)
	v_max_num_f32_e32 v14, v8, v8
	v_dual_max_num_f32 v14, v14, v12 :: v_dual_add_nc_u32 v12, s23, v9
	s_delay_alu instid0(VALU_DEP_1) | instskip(NEXT) | instid1(VALU_DEP_2)
	v_cndmask_b32_e32 v8, v14, v8, vcc_lo
	v_cmpx_gt_u32_e64 s11, v12
	s_cbranch_execz .LBB15_57
; %bb.61:                               ;   in Loop: Header=BB15_59 Depth=1
	s_clause 0x1
	global_load_b64 v[14:15], v12, s[16:17] scale_offset
	global_load_b64 v[16:17], v12, s[18:19] scale_offset
	s_mov_b32 s36, exec_lo
	s_wait_loadcnt 0x0
	v_dual_lshlrev_b32 v12, 16, v14 :: v_dual_lshlrev_b32 v19, 16, v16
	v_and_b32_e32 v18, 0xffff0000, v14
	v_alignbit_b32 v14, v15, v14, 16
	v_and_b32_e32 v15, 0xffff0000, v15
	s_delay_alu instid0(VALU_DEP_3) | instskip(NEXT) | instid1(VALU_DEP_2)
	v_dual_mul_f32 v12, v10, v12 :: v_dual_mul_f32 v18, v10, v18
	v_mul_f32_e32 v15, v10, v15
	s_delay_alu instid0(VALU_DEP_2) | instskip(SKIP_1) | instid1(VALU_DEP_4)
	v_bfe_u32 v13, v12, 16, 1
	v_cmp_o_f32_e32 vcc_lo, v12, v12
	v_bfe_u32 v20, v18, 16, 1
	s_delay_alu instid0(VALU_DEP_3) | instskip(NEXT) | instid1(VALU_DEP_1)
	v_add3_u32 v13, v12, v13, 0x7fff
	v_and_b32_e32 v13, 0xffff0000, v13
	s_delay_alu instid0(VALU_DEP_1)
	v_cndmask_b32_e32 v12, 0x7fc00000, v13, vcc_lo
	v_and_b32_e32 v13, 0xffff0000, v14
	v_add3_u32 v14, v18, v20, 0x7fff
	v_and_b32_e32 v20, 0xffff0000, v16
	v_cmp_o_f32_e32 vcc_lo, v18, v18
	v_alignbit_b32 v16, v17, v16, 16
	v_mul_f32_e32 v13, v10, v13
	v_and_b32_e32 v14, 0xffff0000, v14
	s_delay_alu instid0(VALU_DEP_3) | instskip(NEXT) | instid1(VALU_DEP_3)
	v_and_b32_e32 v16, 0xffff0000, v16
	v_bfe_u32 v22, v13, 16, 1
	s_delay_alu instid0(VALU_DEP_3) | instskip(SKIP_3) | instid1(VALU_DEP_4)
	v_cndmask_b32_e32 v14, 0x7fc00000, v14, vcc_lo
	v_mul_f32_e32 v12, v12, v19
	v_max_num_f32_e32 v19, v8, v8
	v_cmp_o_f32_e32 vcc_lo, v13, v13
	v_mul_f32_e32 v14, v14, v20
	s_delay_alu instid0(VALU_DEP_4) | instskip(NEXT) | instid1(VALU_DEP_1)
	v_bfe_u32 v21, v12, 16, 1
	v_add3_u32 v18, v12, v21, 0x7fff
	v_add3_u32 v21, v13, v22, 0x7fff
	v_bfe_u32 v22, v15, 16, 1
	s_delay_alu instid0(VALU_DEP_3) | instskip(NEXT) | instid1(VALU_DEP_3)
	v_and_b32_e32 v18, 0xffff0000, v18
	v_and_b32_e32 v20, 0xffff0000, v21
	v_bfe_u32 v21, v14, 16, 1
	s_delay_alu instid0(VALU_DEP_3) | instskip(NEXT) | instid1(VALU_DEP_3)
	v_max_num_f32_e64 v18, |v18|, |v18|
	v_cndmask_b32_e32 v13, 0x7fc00000, v20, vcc_lo
	s_delay_alu instid0(VALU_DEP_3)
	v_add3_u32 v20, v14, v21, 0x7fff
	v_cmp_u_f32_e32 vcc_lo, v12, v12
	v_and_b32_e32 v12, 0xffff0000, v17
	v_max_num_f32_e32 v18, v19, v18
	v_add3_u32 v19, v15, v22, 0x7fff
	v_mul_f32_e32 v13, v13, v16
	v_and_b32_e32 v16, 0xffff0000, v20
	s_delay_alu instid0(VALU_DEP_4) | instskip(NEXT) | instid1(VALU_DEP_4)
	v_cndmask_b32_e32 v8, v18, v8, vcc_lo
	v_and_b32_e32 v17, 0xffff0000, v19
	v_cmp_o_f32_e32 vcc_lo, v15, v15
	s_delay_alu instid0(VALU_DEP_4) | instskip(SKIP_4) | instid1(VALU_DEP_4)
	v_max_num_f32_e64 v16, |v16|, |v16|
	v_bfe_u32 v18, v13, 16, 1
	v_max_num_f32_e32 v19, v8, v8
	v_cndmask_b32_e32 v15, 0x7fc00000, v17, vcc_lo
	v_cmp_u_f32_e32 vcc_lo, v14, v14
	v_add3_u32 v17, v13, v18, 0x7fff
	s_delay_alu instid0(VALU_DEP_4) | instskip(NEXT) | instid1(VALU_DEP_1)
	v_max_num_f32_e32 v16, v19, v16
	v_cndmask_b32_e32 v8, v16, v8, vcc_lo
	v_cmp_u_f32_e32 vcc_lo, v13, v13
	s_delay_alu instid0(VALU_DEP_2) | instskip(SKIP_2) | instid1(VALU_DEP_1)
	v_max_num_f32_e32 v16, v8, v8
	v_mul_f32_e32 v15, v15, v12
	v_and_b32_e32 v12, 0xffff0000, v17
	v_max_num_f32_e64 v12, |v12|, |v12|
	s_delay_alu instid0(VALU_DEP_1) | instskip(NEXT) | instid1(VALU_DEP_4)
	v_max_num_f32_e32 v12, v16, v12
	v_bfe_u32 v14, v15, 16, 1
	s_delay_alu instid0(VALU_DEP_2) | instskip(NEXT) | instid1(VALU_DEP_2)
	v_cndmask_b32_e32 v8, v12, v8, vcc_lo
	v_add3_u32 v14, v15, v14, 0x7fff
	v_cmp_u_f32_e32 vcc_lo, v15, v15
	s_delay_alu instid0(VALU_DEP_3) | instskip(NEXT) | instid1(VALU_DEP_3)
	v_max_num_f32_e32 v13, v8, v8
	v_and_b32_e32 v14, 0xffff0000, v14
	s_delay_alu instid0(VALU_DEP_1) | instskip(NEXT) | instid1(VALU_DEP_1)
	v_max_num_f32_e64 v12, |v14|, |v14|
	v_dual_max_num_f32 v13, v13, v12 :: v_dual_add_nc_u32 v12, s30, v9
                                        ; implicit-def: $vgpr9
	s_delay_alu instid0(VALU_DEP_1) | instskip(NEXT) | instid1(VALU_DEP_2)
	v_cndmask_b32_e32 v8, v13, v8, vcc_lo
	v_cmpx_gt_u32_e64 s11, v12
	s_xor_b32 s36, exec_lo, s36
	s_cbranch_execz .LBB15_56
; %bb.62:                               ;   in Loop: Header=BB15_59 Depth=1
	s_clause 0x1
	global_load_b64 v[14:15], v12, s[16:17] scale_offset
	global_load_b64 v[16:17], v12, s[18:19] scale_offset
	s_wait_loadcnt 0x1
	v_and_b32_e32 v13, 0xffff0000, v14
	v_lshlrev_b32_e32 v9, 16, v14
	v_alignbit_b32 v14, v15, v14, 16
	v_and_b32_e32 v15, 0xffff0000, v15
	s_wait_loadcnt 0x0
	v_dual_mul_f32 v13, v10, v13 :: v_dual_lshlrev_b32 v18, 16, v16
	s_delay_alu instid0(VALU_DEP_2) | instskip(NEXT) | instid1(VALU_DEP_2)
	v_dual_mul_f32 v9, v10, v9 :: v_dual_mul_f32 v15, v10, v15
	v_bfe_u32 v19, v13, 16, 1
	s_delay_alu instid0(VALU_DEP_2) | instskip(SKIP_1) | instid1(VALU_DEP_2)
	v_bfe_u32 v12, v9, 16, 1
	v_cmp_o_f32_e32 vcc_lo, v9, v9
	v_add3_u32 v12, v9, v12, 0x7fff
	s_delay_alu instid0(VALU_DEP_1) | instskip(NEXT) | instid1(VALU_DEP_1)
	v_and_b32_e32 v12, 0xffff0000, v12
	v_cndmask_b32_e32 v9, 0x7fc00000, v12, vcc_lo
	v_and_b32_e32 v12, 0xffff0000, v14
	v_add3_u32 v14, v13, v19, 0x7fff
	v_cmp_o_f32_e32 vcc_lo, v13, v13
	s_delay_alu instid0(VALU_DEP_3) | instskip(NEXT) | instid1(VALU_DEP_3)
	v_dual_mul_f32 v12, v10, v12 :: v_dual_mul_f32 v9, v9, v18
	v_and_b32_e32 v14, 0xffff0000, v14
	v_and_b32_e32 v18, 0xffff0000, v16
	v_alignbit_b32 v16, v17, v16, 16
	s_delay_alu instid0(VALU_DEP_4) | instskip(SKIP_1) | instid1(VALU_DEP_3)
	v_bfe_u32 v20, v12, 16, 1
	v_and_b32_e32 v17, 0xffff0000, v17
	v_and_b32_e32 v16, 0xffff0000, v16
	v_dual_cndmask_b32 v13, 0x7fc00000, v14 :: v_dual_max_num_f32 v14, v8, v8
	v_bfe_u32 v19, v9, 16, 1
	v_add3_u32 v20, v12, v20, 0x7fff
	v_cmp_o_f32_e32 vcc_lo, v12, v12
	s_delay_alu instid0(VALU_DEP_4) | instskip(NEXT) | instid1(VALU_DEP_4)
	v_mul_f32_e32 v13, v13, v18
	v_add3_u32 v19, v9, v19, 0x7fff
	s_delay_alu instid0(VALU_DEP_1) | instskip(SKIP_1) | instid1(VALU_DEP_4)
	v_and_b32_e32 v18, 0xffff0000, v19
	v_and_b32_e32 v19, 0xffff0000, v20
	v_bfe_u32 v20, v13, 16, 1
	s_delay_alu instid0(VALU_DEP_3) | instskip(NEXT) | instid1(VALU_DEP_3)
	v_max_num_f32_e64 v18, |v18|, |v18|
	v_cndmask_b32_e32 v12, 0x7fc00000, v19, vcc_lo
	v_cmp_u_f32_e32 vcc_lo, v9, v9
	s_delay_alu instid0(VALU_DEP_4) | instskip(NEXT) | instid1(VALU_DEP_4)
	v_add3_u32 v19, v13, v20, 0x7fff
	v_max_num_f32_e32 v14, v14, v18
	v_bfe_u32 v18, v15, 16, 1
	s_delay_alu instid0(VALU_DEP_2) | instskip(NEXT) | instid1(VALU_DEP_2)
	v_cndmask_b32_e32 v8, v14, v8, vcc_lo
	v_add3_u32 v9, v15, v18, 0x7fff
	v_cmp_o_f32_e32 vcc_lo, v15, v15
	s_delay_alu instid0(VALU_DEP_3) | instskip(NEXT) | instid1(VALU_DEP_3)
	v_max_num_f32_e32 v18, v8, v8
	v_and_b32_e32 v9, 0xffff0000, v9
	s_delay_alu instid0(VALU_DEP_1) | instskip(SKIP_1) | instid1(VALU_DEP_2)
	v_cndmask_b32_e32 v9, 0x7fc00000, v9, vcc_lo
	v_cmp_u_f32_e32 vcc_lo, v13, v13
	v_dual_mul_f32 v13, v9, v17 :: v_dual_mul_f32 v12, v12, v16
	v_and_b32_e32 v16, 0xffff0000, v19
	s_delay_alu instid0(VALU_DEP_2) | instskip(NEXT) | instid1(VALU_DEP_3)
	v_bfe_u32 v15, v13, 16, 1
	v_bfe_u32 v14, v12, 16, 1
	s_delay_alu instid0(VALU_DEP_3) | instskip(SKIP_1) | instid1(VALU_DEP_3)
	v_max_num_f32_e64 v16, |v16|, |v16|
	v_cmp_u_f32_e64 s10, v13, v13
	v_add3_u32 v14, v12, v14, 0x7fff
	s_delay_alu instid0(VALU_DEP_3) | instskip(NEXT) | instid1(VALU_DEP_2)
	v_max_num_f32_e32 v16, v18, v16
	v_and_b32_e32 v14, 0xffff0000, v14
	s_delay_alu instid0(VALU_DEP_2) | instskip(SKIP_1) | instid1(VALU_DEP_3)
	v_cndmask_b32_e32 v8, v16, v8, vcc_lo
	v_cmp_u_f32_e32 vcc_lo, v12, v12
	v_max_num_f32_e64 v9, |v14|, |v14|
	s_delay_alu instid0(VALU_DEP_3) | instskip(NEXT) | instid1(VALU_DEP_1)
	v_max_num_f32_e32 v14, v8, v8
	v_max_num_f32_e32 v9, v14, v9
	v_add3_u32 v14, v13, v15, 0x7fff
	s_delay_alu instid0(VALU_DEP_2) | instskip(NEXT) | instid1(VALU_DEP_2)
	v_cndmask_b32_e32 v8, v9, v8, vcc_lo
	v_and_b32_e32 v9, 0xffff0000, v14
	s_delay_alu instid0(VALU_DEP_2) | instskip(NEXT) | instid1(VALU_DEP_2)
	v_max_num_f32_e32 v12, v8, v8
	v_max_num_f32_e64 v14, |v9|, |v9|
	v_add3_u32 v9, s31, s28, v11
	s_delay_alu instid0(VALU_DEP_2) | instskip(NEXT) | instid1(VALU_DEP_2)
	v_max_num_f32_e32 v11, v12, v14
	v_cmp_le_u32_e32 vcc_lo, s11, v9
	s_delay_alu instid0(VALU_DEP_2)
	v_cndmask_b32_e64 v8, v11, v8, s10
	s_or_not1_b32 s10, vcc_lo, exec_lo
	s_branch .LBB15_56
.LBB15_63:
	s_or_b32 exec_lo, exec_lo, s29
.LBB15_64:
	s_delay_alu instid0(SALU_CYCLE_1)
	s_or_b32 exec_lo, exec_lo, s22
	ds_bpermute_b32 v3, v3, v8
	v_or_b32_e32 v9, 0x80, v2
	s_wait_dscnt 0x0
	v_cmp_lt_f32_e32 vcc_lo, v8, v3
	v_cndmask_b32_e32 v3, v8, v3, vcc_lo
	s_delay_alu instid0(VALU_DEP_1) | instskip(SKIP_1) | instid1(SALU_CYCLE_1)
	v_cndmask_b32_e64 v3, v8, v3, s0
	s_or_b32 s0, s0, s1
	s_or_b32 s0, s3, s0
	s_delay_alu instid0(SALU_CYCLE_1)
	s_or_b32 s0, s4, s0
	ds_bpermute_b32 v4, v4, v3
	s_or_b32 s0, s5, s0
	s_wait_dscnt 0x0
	v_cmp_lt_f32_e32 vcc_lo, v3, v4
	v_cndmask_b32_e32 v4, v3, v4, vcc_lo
	s_delay_alu instid0(VALU_DEP_1) | instskip(SKIP_4) | instid1(VALU_DEP_1)
	v_cndmask_b32_e64 v3, v3, v4, s1
	ds_bpermute_b32 v4, v5, v3
	s_wait_dscnt 0x0
	v_cmp_lt_f32_e32 vcc_lo, v3, v4
	v_cndmask_b32_e32 v4, v3, v4, vcc_lo
	v_cndmask_b32_e64 v3, v3, v4, s3
	ds_bpermute_b32 v4, v6, v3
	s_wait_dscnt 0x0
	v_cmp_lt_f32_e32 vcc_lo, v3, v4
	v_cndmask_b32_e32 v4, v3, v4, vcc_lo
	s_delay_alu instid0(VALU_DEP_1) | instskip(SKIP_4) | instid1(VALU_DEP_1)
	v_cndmask_b32_e64 v3, v3, v4, s4
	ds_bpermute_b32 v4, v7, v3
	s_wait_dscnt 0x0
	v_cmp_lt_f32_e32 vcc_lo, v3, v4
	v_cndmask_b32_e32 v4, v3, v4, vcc_lo
	v_cndmask_b32_e64 v3, v3, v4, s5
	ds_bpermute_b32 v4, v9, v3
	s_wait_dscnt 0x0
	v_cmp_lt_f32_e32 vcc_lo, v3, v4
	s_and_b32 vcc_lo, s8, vcc_lo
	v_cndmask_b32_e32 v3, v3, v4, vcc_lo
	s_or_b32 vcc_lo, s8, s0
	s_delay_alu instid0(VALU_DEP_1)
	v_cndmask_b32_e32 v3, v8, v3, vcc_lo
	s_and_saveexec_b32 s0, s6
; %bb.65:
	v_lshrrev_b32_e32 v4, 4, v0
	s_delay_alu instid0(VALU_DEP_1)
	v_and_b32_e32 v4, 60, v4
	ds_store_b32 v4, v3 offset:64
; %bb.66:
	s_or_b32 exec_lo, exec_lo, s0
	s_wait_dscnt 0x0
	s_barrier_signal -1
	s_barrier_wait -1
	s_and_saveexec_b32 s3, s7
	s_cbranch_execz .LBB15_68
; %bb.67:
	ds_load_b32 v3, v2 offset:64
	v_and_b32_e32 v4, 15, v1
	s_add_co_i32 s0, s28, 63
	v_or_b32_e32 v2, 32, v2
	s_lshr_b32 s1, s0, 6
	s_delay_alu instid0(VALU_DEP_2) | instskip(SKIP_4) | instid1(VALU_DEP_3)
	v_cmp_ne_u32_e32 vcc_lo, 15, v4
	v_add_nc_u32_e32 v6, 1, v4
	v_cmp_gt_u32_e64 s0, 12, v4
	v_add_co_ci_u32_e64 v5, null, 0, v1, vcc_lo
	v_cmp_gt_u32_e32 vcc_lo, 14, v4
	v_cndmask_b32_e64 v8, 0, 4, s0
	s_delay_alu instid0(VALU_DEP_3)
	v_lshlrev_b32_e32 v5, 2, v5
	v_cndmask_b32_e64 v7, 0, 2, vcc_lo
	s_wait_dscnt 0x0
	ds_bpermute_b32 v5, v5, v3
	v_add_lshl_u32 v7, v7, v1, 2
	v_add_lshl_u32 v1, v8, v1, 2
	s_wait_dscnt 0x0
	v_cmp_lt_f32_e32 vcc_lo, v3, v5
	v_cndmask_b32_e32 v5, v3, v5, vcc_lo
	v_cmp_gt_u32_e32 vcc_lo, s1, v6
	s_delay_alu instid0(VALU_DEP_2) | instskip(SKIP_3) | instid1(VALU_DEP_1)
	v_cndmask_b32_e32 v5, v3, v5, vcc_lo
	ds_bpermute_b32 v6, v7, v5
	s_wait_dscnt 0x0
	v_cmp_lt_f32_e64 s0, v5, v6
	v_dual_cndmask_b32 v6, v5, v6, s0 :: v_dual_add_nc_u32 v7, 2, v4
	s_delay_alu instid0(VALU_DEP_1) | instskip(NEXT) | instid1(VALU_DEP_1)
	v_cmp_gt_u32_e64 s0, s1, v7
	v_dual_cndmask_b32 v5, v5, v6, s0 :: v_dual_add_nc_u32 v6, 4, v4
	v_add_nc_u32_e32 v4, 8, v4
	ds_bpermute_b32 v1, v1, v5
	s_wait_dscnt 0x0
	v_cmp_lt_f32_e64 s0, v5, v1
	s_delay_alu instid0(VALU_DEP_1) | instskip(SKIP_1) | instid1(VALU_DEP_1)
	v_cndmask_b32_e64 v1, v5, v1, s0
	v_cmp_gt_u32_e64 s0, s1, v6
	v_cndmask_b32_e64 v1, v5, v1, s0
	v_cmp_gt_u32_e64 s0, s1, v4
	ds_bpermute_b32 v2, v2, v1
	s_wait_dscnt 0x0
	v_cmp_lt_f32_e64 s1, v1, v2
	s_and_b32 s0, s0, s1
	s_delay_alu instid0(SALU_CYCLE_1) | instskip(NEXT) | instid1(VALU_DEP_1)
	v_cndmask_b32_e64 v1, v1, v2, s0
	v_cndmask_b32_e32 v3, v3, v1, vcc_lo
.LBB15_68:
	s_or_b32 exec_lo, exec_lo, s3
	s_and_saveexec_b32 s0, s9
	s_cbranch_execz .LBB15_72
; %bb.69:
	s_cmp_eq_u64 s[20:21], 0
	s_cbranch_scc1 .LBB15_71
; %bb.70:
	v_dual_mov_b32 v1, 0 :: v_dual_max_num_f32 v2, v3, v3
	global_load_b32 v1, v1, s[20:21]
	s_wait_loadcnt 0x0
	v_max_num_f32_e32 v1, v1, v1
	s_delay_alu instid0(VALU_DEP_1)
	v_min_num_f32_e32 v3, v2, v1
.LBB15_71:
	s_delay_alu instid0(VALU_DEP_1)
	v_div_scale_f32 v1, null, 0x43e00000, 0x43e00000, v3
	v_div_scale_f32 v5, vcc_lo, v3, 0x43e00000, v3
	s_lshl_b64 s[4:5], s[26:27], 2
	v_rcp_f32_e32 v2, v1
	s_add_nc_u64 s[4:5], s[14:15], s[4:5]
	v_nop
	s_delay_alu instid0(TRANS32_DEP_1) | instskip(NEXT) | instid1(VALU_DEP_1)
	v_fma_f32 v4, -v1, v2, 1.0
	v_fmac_f32_e32 v2, v4, v2
	s_delay_alu instid0(VALU_DEP_1) | instskip(NEXT) | instid1(VALU_DEP_1)
	v_mul_f32_e32 v4, v5, v2
	v_fma_f32 v6, -v1, v4, v5
	s_delay_alu instid0(VALU_DEP_1) | instskip(NEXT) | instid1(VALU_DEP_1)
	v_fmac_f32_e32 v4, v6, v2
	v_fma_f32 v1, -v1, v4, v5
	s_delay_alu instid0(VALU_DEP_1) | instskip(SKIP_1) | instid1(VALU_DEP_2)
	v_div_fmas_f32 v1, v1, v2, v4
	v_mov_b32_e32 v2, 0
	v_div_fixup_f32 v1, v1, 0x43e00000, v3
	s_delay_alu instid0(VALU_DEP_1)
	v_max_num_f32_e32 v1, 0x36924925, v1
	ds_store_b32 v2, v1 offset:260
	global_store_b32 v2, v1, s[4:5]
.LBB15_72:
	s_wait_xcnt 0x0
	s_or_b32 exec_lo, exec_lo, s0
	s_wait_storecnt_dscnt 0x0
	s_barrier_signal -1
	s_barrier_wait -1
	s_and_saveexec_b32 s0, s2
	s_cbranch_execz .LBB15_177
; %bb.73:
	v_mov_b32_e32 v1, 0
	s_add_nc_u64 s[0:1], s[12:13], s[24:25]
	s_lshl_b32 s2, s28, 1
	s_mul_i32 s3, s28, 3
	s_mov_b32 s4, 0
	ds_load_b32 v11, v1 offset:260
	s_mov_b32 s5, 0x43e00000
	s_add_co_i32 s6, s28, s28
	s_branch .LBB15_79
.LBB15_74:                              ;   in Loop: Header=BB15_79 Depth=1
	s_or_b32 exec_lo, exec_lo, s12
.LBB15_75:                              ;   in Loop: Header=BB15_79 Depth=1
	s_delay_alu instid0(SALU_CYCLE_1) | instskip(SKIP_3) | instid1(VALU_DEP_3)
	s_or_b32 exec_lo, exec_lo, s10
	v_dual_lshrrev_b32 v6, 24, v6 :: v_dual_lshrrev_b32 v7, 24, v12
	v_dual_lshrrev_b32 v3, 24, v3 :: v_dual_lshlrev_b32 v12, 24, v4
	v_and_b32_e32 v8, 0xff, v8
	v_and_b32_e32 v6, 0x80, v6
	s_delay_alu instid0(VALU_DEP_4) | instskip(NEXT) | instid1(VALU_DEP_3)
	v_and_b32_e32 v7, 0x80, v7
	v_and_or_b32 v3, 0x80, v3, v8
	s_delay_alu instid0(VALU_DEP_3) | instskip(SKIP_1) | instid1(VALU_DEP_4)
	v_and_or_b32 v6, 0xff, v13, v6
	v_and_b32_e32 v13, 0x80000000, v5
	v_and_or_b32 v7, 0xff, v9, v7
	v_lshl_add_u64 v[4:5], v[0:1], 2, s[0:1]
	v_add3_u32 v0, s6, s28, v2
	s_delay_alu instid0(VALU_DEP_3) | instskip(NEXT) | instid1(VALU_DEP_2)
	v_dual_lshlrev_b32 v6, 16, v6 :: v_dual_lshlrev_b32 v2, 8, v7
	v_cmp_le_u32_e32 vcc_lo, s11, v0
	s_delay_alu instid0(VALU_DEP_2) | instskip(SKIP_1) | instid1(VALU_DEP_1)
	v_or3_b32 v6, v13, v12, v6
	s_or_not1_b32 s10, vcc_lo, exec_lo
	v_or3_b32 v2, v6, v2, v3
	global_store_b32 v[4:5], v2, off
.LBB15_76:                              ;   in Loop: Header=BB15_79 Depth=1
	s_wait_xcnt 0x0
	s_or_b32 exec_lo, exec_lo, s9
	s_delay_alu instid0(SALU_CYCLE_1)
	s_or_not1_b32 s9, s10, exec_lo
.LBB15_77:                              ;   in Loop: Header=BB15_79 Depth=1
	s_or_b32 exec_lo, exec_lo, s8
	s_delay_alu instid0(SALU_CYCLE_1)
	s_or_not1_b32 s8, s9, exec_lo
.LBB15_78:                              ;   in Loop: Header=BB15_79 Depth=1
	s_or_b32 exec_lo, exec_lo, s7
	s_delay_alu instid0(SALU_CYCLE_1) | instskip(NEXT) | instid1(SALU_CYCLE_1)
	s_and_b32 s7, exec_lo, s8
	s_or_b32 s4, s7, s4
	s_delay_alu instid0(SALU_CYCLE_1)
	s_and_not1_b32 exec_lo, exec_lo, s4
	s_cbranch_execz .LBB15_177
.LBB15_79:                              ; =>This Inner Loop Header: Depth=1
	s_clause 0x1
	global_load_b64 v[4:5], v0, s[16:17] scale_offset
	global_load_b64 v[2:3], v0, s[18:19] scale_offset
	s_mov_b32 s7, exec_lo
	s_wait_loadcnt 0x0
	v_dual_lshlrev_b32 v6, 16, v4 :: v_dual_lshlrev_b32 v8, 16, v2
	s_delay_alu instid0(VALU_DEP_1) | instskip(NEXT) | instid1(VALU_DEP_1)
	v_mul_f32_e32 v6, v10, v6
	v_bfe_u32 v7, v6, 16, 1
	v_cmp_o_f32_e32 vcc_lo, v6, v6
	s_delay_alu instid0(VALU_DEP_2) | instskip(NEXT) | instid1(VALU_DEP_1)
	v_add3_u32 v7, v6, v7, 0x7fff
	v_and_b32_e32 v7, 0xffff0000, v7
	s_delay_alu instid0(VALU_DEP_1) | instskip(NEXT) | instid1(VALU_DEP_1)
	v_cndmask_b32_e32 v6, 0x7fc00000, v7, vcc_lo
	v_mul_f32_e32 v6, v6, v8
	s_delay_alu instid0(VALU_DEP_1) | instskip(SKIP_1) | instid1(VALU_DEP_2)
	v_bfe_u32 v7, v6, 16, 1
	v_cmp_o_f32_e32 vcc_lo, v6, v6
	v_add3_u32 v7, v6, v7, 0x7fff
	s_delay_alu instid0(VALU_DEP_1) | instskip(NEXT) | instid1(VALU_DEP_1)
	v_and_b32_e32 v7, 0xffff0000, v7
	v_cndmask_b32_e32 v6, 0x7fc00000, v7, vcc_lo
	s_wait_dscnt 0x0
	s_delay_alu instid0(VALU_DEP_1) | instskip(SKIP_1) | instid1(VALU_DEP_2)
	v_div_scale_f32 v7, null, v11, v11, v6
	v_div_scale_f32 v12, vcc_lo, v6, v11, v6
	v_rcp_f32_e32 v8, v7
	v_nop
	s_delay_alu instid0(TRANS32_DEP_1) | instskip(NEXT) | instid1(VALU_DEP_1)
	v_fma_f32 v9, -v7, v8, 1.0
	v_fmac_f32_e32 v8, v9, v8
	s_delay_alu instid0(VALU_DEP_1) | instskip(NEXT) | instid1(VALU_DEP_1)
	v_mul_f32_e32 v9, v12, v8
	v_fma_f32 v13, -v7, v9, v12
	s_delay_alu instid0(VALU_DEP_1) | instskip(NEXT) | instid1(VALU_DEP_1)
	v_fmac_f32_e32 v9, v13, v8
	v_fma_f32 v7, -v7, v9, v12
	s_delay_alu instid0(VALU_DEP_1) | instskip(SKIP_1) | instid1(VALU_DEP_2)
	v_div_fmas_f32 v7, v7, v8, v9
	v_mov_b32_e32 v8, 0x7f
	v_div_fixup_f32 v6, v7, v11, v6
	v_mov_b32_e32 v7, 0x7f
	s_delay_alu instid0(VALU_DEP_2) | instskip(NEXT) | instid1(VALU_DEP_1)
	v_minmax_num_f32 v6, v6, s5, 0xc3e00000
	v_and_b32_e32 v9, 0x7fffffff, v6
	s_wait_xcnt 0x0
	s_delay_alu instid0(VALU_DEP_1)
	v_cmpx_gt_u32_e32 0x43f00000, v9
	s_cbranch_execz .LBB15_85
; %bb.80:                               ;   in Loop: Header=BB15_79 Depth=1
	s_mov_b32 s8, exec_lo
                                        ; implicit-def: $vgpr7
	v_cmpx_lt_u32_e32 0x3c7fffff, v9
	s_xor_b32 s8, exec_lo, s8
; %bb.81:                               ;   in Loop: Header=BB15_79 Depth=1
	v_bfe_u32 v7, v6, 20, 1
	s_delay_alu instid0(VALU_DEP_1) | instskip(NEXT) | instid1(VALU_DEP_1)
	v_add3_u32 v7, v6, v7, 0x407ffff
	v_lshrrev_b32_e32 v7, 20, v7
; %bb.82:                               ;   in Loop: Header=BB15_79 Depth=1
	s_and_not1_saveexec_b32 s8, s8
; %bb.83:                               ;   in Loop: Header=BB15_79 Depth=1
	v_add_f32_e64 v7, 0x46800000, |v6|
; %bb.84:                               ;   in Loop: Header=BB15_79 Depth=1
	s_or_b32 exec_lo, exec_lo, s8
.LBB15_85:                              ;   in Loop: Header=BB15_79 Depth=1
	s_delay_alu instid0(SALU_CYCLE_1) | instskip(SKIP_3) | instid1(VALU_DEP_2)
	s_or_b32 exec_lo, exec_lo, s7
	v_and_b32_e32 v9, 0xffff0000, v4
	v_and_b32_e32 v13, 0xffff0000, v2
	s_mov_b32 s7, exec_lo
	v_mul_f32_e32 v9, v10, v9
	s_delay_alu instid0(VALU_DEP_1) | instskip(SKIP_1) | instid1(VALU_DEP_2)
	v_bfe_u32 v12, v9, 16, 1
	v_cmp_o_f32_e32 vcc_lo, v9, v9
	v_add3_u32 v12, v9, v12, 0x7fff
	s_delay_alu instid0(VALU_DEP_1) | instskip(NEXT) | instid1(VALU_DEP_1)
	v_and_b32_e32 v12, 0xffff0000, v12
	v_cndmask_b32_e32 v9, 0x7fc00000, v12, vcc_lo
	s_delay_alu instid0(VALU_DEP_1) | instskip(NEXT) | instid1(VALU_DEP_1)
	v_mul_f32_e32 v9, v9, v13
	v_bfe_u32 v12, v9, 16, 1
	v_cmp_o_f32_e32 vcc_lo, v9, v9
	s_delay_alu instid0(VALU_DEP_2) | instskip(NEXT) | instid1(VALU_DEP_1)
	v_add3_u32 v12, v9, v12, 0x7fff
	v_and_b32_e32 v12, 0xffff0000, v12
	s_delay_alu instid0(VALU_DEP_1) | instskip(NEXT) | instid1(VALU_DEP_1)
	v_cndmask_b32_e32 v9, 0x7fc00000, v12, vcc_lo
	v_div_scale_f32 v12, null, v11, v11, v9
	s_delay_alu instid0(VALU_DEP_1) | instskip(SKIP_1) | instid1(TRANS32_DEP_1)
	v_rcp_f32_e32 v13, v12
	v_nop
	v_fma_f32 v14, -v12, v13, 1.0
	s_delay_alu instid0(VALU_DEP_1) | instskip(SKIP_1) | instid1(VALU_DEP_1)
	v_fmac_f32_e32 v13, v14, v13
	v_div_scale_f32 v14, vcc_lo, v9, v11, v9
	v_mul_f32_e32 v15, v14, v13
	s_delay_alu instid0(VALU_DEP_1) | instskip(NEXT) | instid1(VALU_DEP_1)
	v_fma_f32 v16, -v12, v15, v14
	v_fmac_f32_e32 v15, v16, v13
	s_delay_alu instid0(VALU_DEP_1) | instskip(NEXT) | instid1(VALU_DEP_1)
	v_fma_f32 v12, -v12, v15, v14
	v_div_fmas_f32 v12, v12, v13, v15
	s_delay_alu instid0(VALU_DEP_1) | instskip(NEXT) | instid1(VALU_DEP_1)
	v_div_fixup_f32 v9, v12, v11, v9
	v_minmax_num_f32 v9, v9, s5, 0xc3e00000
	s_delay_alu instid0(VALU_DEP_1) | instskip(NEXT) | instid1(VALU_DEP_1)
	v_and_b32_e32 v12, 0x7fffffff, v9
	v_cmpx_gt_u32_e32 0x43f00000, v12
	s_cbranch_execz .LBB15_91
; %bb.86:                               ;   in Loop: Header=BB15_79 Depth=1
	s_mov_b32 s8, exec_lo
                                        ; implicit-def: $vgpr8
	v_cmpx_lt_u32_e32 0x3c7fffff, v12
	s_xor_b32 s8, exec_lo, s8
; %bb.87:                               ;   in Loop: Header=BB15_79 Depth=1
	v_bfe_u32 v8, v9, 20, 1
	s_delay_alu instid0(VALU_DEP_1) | instskip(NEXT) | instid1(VALU_DEP_1)
	v_add3_u32 v8, v9, v8, 0x407ffff
	v_lshrrev_b32_e32 v8, 20, v8
; %bb.88:                               ;   in Loop: Header=BB15_79 Depth=1
	s_and_not1_saveexec_b32 s8, s8
; %bb.89:                               ;   in Loop: Header=BB15_79 Depth=1
	v_add_f32_e64 v8, 0x46800000, |v9|
; %bb.90:                               ;   in Loop: Header=BB15_79 Depth=1
	s_or_b32 exec_lo, exec_lo, s8
.LBB15_91:                              ;   in Loop: Header=BB15_79 Depth=1
	s_delay_alu instid0(SALU_CYCLE_1) | instskip(SKIP_3) | instid1(VALU_DEP_2)
	s_or_b32 exec_lo, exec_lo, s7
	v_alignbit_b32 v4, v5, v4, 16
	v_alignbit_b32 v2, v3, v2, 16
	s_mov_b32 s7, exec_lo
	v_and_b32_e32 v4, 0xffff0000, v4
	s_delay_alu instid0(VALU_DEP_2) | instskip(NEXT) | instid1(VALU_DEP_2)
	v_and_b32_e32 v2, 0xffff0000, v2
	v_mul_f32_e32 v4, v10, v4
	s_delay_alu instid0(VALU_DEP_1) | instskip(SKIP_1) | instid1(VALU_DEP_2)
	v_bfe_u32 v12, v4, 16, 1
	v_cmp_o_f32_e32 vcc_lo, v4, v4
	v_add3_u32 v12, v4, v12, 0x7fff
	s_delay_alu instid0(VALU_DEP_1) | instskip(NEXT) | instid1(VALU_DEP_1)
	v_and_b32_e32 v12, 0xffff0000, v12
	v_cndmask_b32_e32 v4, 0x7fc00000, v12, vcc_lo
	s_delay_alu instid0(VALU_DEP_1) | instskip(NEXT) | instid1(VALU_DEP_1)
	v_mul_f32_e32 v2, v4, v2
	v_bfe_u32 v4, v2, 16, 1
	v_cmp_o_f32_e32 vcc_lo, v2, v2
	s_delay_alu instid0(VALU_DEP_2) | instskip(NEXT) | instid1(VALU_DEP_1)
	v_add3_u32 v4, v2, v4, 0x7fff
	v_and_b32_e32 v4, 0xffff0000, v4
	s_delay_alu instid0(VALU_DEP_1) | instskip(NEXT) | instid1(VALU_DEP_1)
	v_cndmask_b32_e32 v2, 0x7fc00000, v4, vcc_lo
	v_div_scale_f32 v4, null, v11, v11, v2
	v_div_scale_f32 v14, vcc_lo, v2, v11, v2
	s_delay_alu instid0(VALU_DEP_2) | instskip(SKIP_1) | instid1(TRANS32_DEP_1)
	v_rcp_f32_e32 v12, v4
	v_nop
	v_fma_f32 v13, -v4, v12, 1.0
	s_delay_alu instid0(VALU_DEP_1) | instskip(NEXT) | instid1(VALU_DEP_1)
	v_fmac_f32_e32 v12, v13, v12
	v_mul_f32_e32 v13, v14, v12
	s_delay_alu instid0(VALU_DEP_1) | instskip(NEXT) | instid1(VALU_DEP_1)
	v_fma_f32 v15, -v4, v13, v14
	v_fmac_f32_e32 v13, v15, v12
	s_delay_alu instid0(VALU_DEP_1) | instskip(NEXT) | instid1(VALU_DEP_1)
	v_fma_f32 v4, -v4, v13, v14
	v_div_fmas_f32 v4, v4, v12, v13
	v_mov_b32_e32 v12, 0x7f
	s_delay_alu instid0(VALU_DEP_2) | instskip(NEXT) | instid1(VALU_DEP_1)
	v_div_fixup_f32 v2, v4, v11, v2
	v_minmax_num_f32 v4, v2, s5, 0xc3e00000
	v_mov_b32_e32 v2, 0x7f
	s_delay_alu instid0(VALU_DEP_2) | instskip(NEXT) | instid1(VALU_DEP_1)
	v_and_b32_e32 v13, 0x7fffffff, v4
	v_cmpx_gt_u32_e32 0x43f00000, v13
	s_cbranch_execz .LBB15_97
; %bb.92:                               ;   in Loop: Header=BB15_79 Depth=1
	s_mov_b32 s8, exec_lo
                                        ; implicit-def: $vgpr12
	v_cmpx_lt_u32_e32 0x3c7fffff, v13
	s_xor_b32 s8, exec_lo, s8
; %bb.93:                               ;   in Loop: Header=BB15_79 Depth=1
	v_bfe_u32 v12, v4, 20, 1
	s_delay_alu instid0(VALU_DEP_1) | instskip(NEXT) | instid1(VALU_DEP_1)
	v_add3_u32 v12, v4, v12, 0x407ffff
	v_lshrrev_b32_e32 v12, 20, v12
; %bb.94:                               ;   in Loop: Header=BB15_79 Depth=1
	s_and_not1_saveexec_b32 s8, s8
; %bb.95:                               ;   in Loop: Header=BB15_79 Depth=1
	v_add_f32_e64 v12, 0x46800000, |v4|
; %bb.96:                               ;   in Loop: Header=BB15_79 Depth=1
	s_or_b32 exec_lo, exec_lo, s8
.LBB15_97:                              ;   in Loop: Header=BB15_79 Depth=1
	s_delay_alu instid0(SALU_CYCLE_1) | instskip(SKIP_3) | instid1(VALU_DEP_2)
	s_or_b32 exec_lo, exec_lo, s7
	v_and_b32_e32 v5, 0xffff0000, v5
	v_and_b32_e32 v3, 0xffff0000, v3
	s_mov_b32 s7, exec_lo
	v_mul_f32_e32 v5, v10, v5
	s_delay_alu instid0(VALU_DEP_1) | instskip(SKIP_1) | instid1(VALU_DEP_2)
	v_bfe_u32 v13, v5, 16, 1
	v_cmp_o_f32_e32 vcc_lo, v5, v5
	v_add3_u32 v13, v5, v13, 0x7fff
	s_delay_alu instid0(VALU_DEP_1) | instskip(NEXT) | instid1(VALU_DEP_1)
	v_and_b32_e32 v13, 0xffff0000, v13
	v_cndmask_b32_e32 v5, 0x7fc00000, v13, vcc_lo
	s_delay_alu instid0(VALU_DEP_1) | instskip(NEXT) | instid1(VALU_DEP_1)
	v_mul_f32_e32 v3, v5, v3
	v_bfe_u32 v5, v3, 16, 1
	v_cmp_o_f32_e32 vcc_lo, v3, v3
	s_delay_alu instid0(VALU_DEP_2) | instskip(NEXT) | instid1(VALU_DEP_1)
	v_add3_u32 v5, v3, v5, 0x7fff
	v_and_b32_e32 v5, 0xffff0000, v5
	s_delay_alu instid0(VALU_DEP_1) | instskip(NEXT) | instid1(VALU_DEP_1)
	v_cndmask_b32_e32 v3, 0x7fc00000, v5, vcc_lo
	v_div_scale_f32 v5, null, v11, v11, v3
	s_delay_alu instid0(VALU_DEP_1) | instskip(SKIP_1) | instid1(TRANS32_DEP_1)
	v_rcp_f32_e32 v13, v5
	v_nop
	v_fma_f32 v14, -v5, v13, 1.0
	s_delay_alu instid0(VALU_DEP_1) | instskip(SKIP_1) | instid1(VALU_DEP_1)
	v_fmac_f32_e32 v13, v14, v13
	v_div_scale_f32 v14, vcc_lo, v3, v11, v3
	v_mul_f32_e32 v15, v14, v13
	s_delay_alu instid0(VALU_DEP_1) | instskip(NEXT) | instid1(VALU_DEP_1)
	v_fma_f32 v16, -v5, v15, v14
	v_fmac_f32_e32 v15, v16, v13
	s_delay_alu instid0(VALU_DEP_1) | instskip(NEXT) | instid1(VALU_DEP_1)
	v_fma_f32 v5, -v5, v15, v14
	v_div_fmas_f32 v5, v5, v13, v15
	s_delay_alu instid0(VALU_DEP_1) | instskip(NEXT) | instid1(VALU_DEP_1)
	v_div_fixup_f32 v3, v5, v11, v3
	v_minmax_num_f32 v3, v3, s5, 0xc3e00000
	s_delay_alu instid0(VALU_DEP_1) | instskip(NEXT) | instid1(VALU_DEP_1)
	v_and_b32_e32 v5, 0x7fffffff, v3
	v_cmpx_gt_u32_e32 0x43f00000, v5
	s_cbranch_execz .LBB15_103
; %bb.98:                               ;   in Loop: Header=BB15_79 Depth=1
	s_mov_b32 s8, exec_lo
                                        ; implicit-def: $vgpr2
	v_cmpx_lt_u32_e32 0x3c7fffff, v5
	s_xor_b32 s8, exec_lo, s8
; %bb.99:                               ;   in Loop: Header=BB15_79 Depth=1
	v_bfe_u32 v2, v3, 20, 1
	s_delay_alu instid0(VALU_DEP_1) | instskip(NEXT) | instid1(VALU_DEP_1)
	v_add3_u32 v2, v3, v2, 0x407ffff
	v_lshrrev_b32_e32 v2, 20, v2
; %bb.100:                              ;   in Loop: Header=BB15_79 Depth=1
	s_and_not1_saveexec_b32 s8, s8
; %bb.101:                              ;   in Loop: Header=BB15_79 Depth=1
	v_add_f32_e64 v2, 0x46800000, |v3|
; %bb.102:                              ;   in Loop: Header=BB15_79 Depth=1
	s_or_b32 exec_lo, exec_lo, s8
.LBB15_103:                             ;   in Loop: Header=BB15_79 Depth=1
	s_delay_alu instid0(SALU_CYCLE_1) | instskip(SKIP_4) | instid1(VALU_DEP_3)
	s_or_b32 exec_lo, exec_lo, s7
	v_dual_lshrrev_b32 v4, 24, v4 :: v_dual_lshrrev_b32 v5, 24, v9
	v_and_b32_e32 v3, 0x80000000, v3
	v_and_b32_e32 v7, 0xff, v7
	s_mov_b32 s8, -1
	v_and_b32_e32 v4, 0x80, v4
	v_and_b32_e32 v5, 0x80, v5
	s_mov_b32 s7, exec_lo
	s_delay_alu instid0(VALU_DEP_2) | instskip(SKIP_1) | instid1(VALU_DEP_3)
	v_and_or_b32 v4, 0xff, v12, v4
	v_lshrrev_b32_e32 v6, 24, v6
	v_and_or_b32 v5, 0xff, v8, v5
	s_delay_alu instid0(VALU_DEP_3) | instskip(NEXT) | instid1(VALU_DEP_3)
	v_dual_lshlrev_b32 v2, 24, v2 :: v_dual_lshlrev_b32 v4, 16, v4
	v_and_or_b32 v6, 0x80, v6, v7
	s_delay_alu instid0(VALU_DEP_3) | instskip(NEXT) | instid1(VALU_DEP_3)
	v_lshlrev_b32_e32 v8, 8, v5
	v_or3_b32 v3, v3, v2, v4
	v_add_nc_u32_e32 v2, s28, v0
	v_lshl_add_u64 v[4:5], v[0:1], 2, s[0:1]
	s_delay_alu instid0(VALU_DEP_3)
	v_or3_b32 v3, v3, v8, v6
	global_store_b32 v[4:5], v3, off
	s_wait_xcnt 0x0
	v_cmpx_gt_u32_e64 s11, v2
	s_cbranch_execz .LBB15_78
; %bb.104:                              ;   in Loop: Header=BB15_79 Depth=1
	s_clause 0x1
	global_load_b64 v[6:7], v2, s[16:17] scale_offset
	global_load_b64 v[4:5], v2, s[18:19] scale_offset
	s_mov_b32 s8, exec_lo
	s_wait_loadcnt 0x0
	v_dual_lshlrev_b32 v3, 16, v6 :: v_dual_lshlrev_b32 v9, 16, v4
	s_delay_alu instid0(VALU_DEP_1) | instskip(NEXT) | instid1(VALU_DEP_1)
	v_mul_f32_e32 v3, v10, v3
	v_bfe_u32 v8, v3, 16, 1
	v_cmp_o_f32_e32 vcc_lo, v3, v3
	s_delay_alu instid0(VALU_DEP_2) | instskip(NEXT) | instid1(VALU_DEP_1)
	v_add3_u32 v8, v3, v8, 0x7fff
	v_and_b32_e32 v8, 0xffff0000, v8
	s_delay_alu instid0(VALU_DEP_1) | instskip(NEXT) | instid1(VALU_DEP_1)
	v_cndmask_b32_e32 v3, 0x7fc00000, v8, vcc_lo
	v_mul_f32_e32 v3, v3, v9
	s_delay_alu instid0(VALU_DEP_1) | instskip(SKIP_1) | instid1(VALU_DEP_2)
	v_bfe_u32 v8, v3, 16, 1
	v_cmp_o_f32_e32 vcc_lo, v3, v3
	v_add3_u32 v8, v3, v8, 0x7fff
	s_delay_alu instid0(VALU_DEP_1) | instskip(NEXT) | instid1(VALU_DEP_1)
	v_and_b32_e32 v8, 0xffff0000, v8
	v_cndmask_b32_e32 v3, 0x7fc00000, v8, vcc_lo
	s_delay_alu instid0(VALU_DEP_1) | instskip(SKIP_1) | instid1(VALU_DEP_2)
	v_div_scale_f32 v8, null, v11, v11, v3
	v_div_scale_f32 v13, vcc_lo, v3, v11, v3
	v_rcp_f32_e32 v9, v8
	v_nop
	s_delay_alu instid0(TRANS32_DEP_1) | instskip(NEXT) | instid1(VALU_DEP_1)
	v_fma_f32 v12, -v8, v9, 1.0
	v_fmac_f32_e32 v9, v12, v9
	s_delay_alu instid0(VALU_DEP_1) | instskip(NEXT) | instid1(VALU_DEP_1)
	v_mul_f32_e32 v12, v13, v9
	v_fma_f32 v14, -v8, v12, v13
	s_delay_alu instid0(VALU_DEP_1) | instskip(NEXT) | instid1(VALU_DEP_1)
	v_fmac_f32_e32 v12, v14, v9
	v_fma_f32 v8, -v8, v12, v13
	s_delay_alu instid0(VALU_DEP_1) | instskip(SKIP_1) | instid1(VALU_DEP_2)
	v_div_fmas_f32 v8, v8, v9, v12
	v_mov_b32_e32 v9, 0x7f
	v_div_fixup_f32 v3, v8, v11, v3
	v_mov_b32_e32 v8, 0x7f
	s_delay_alu instid0(VALU_DEP_2) | instskip(NEXT) | instid1(VALU_DEP_1)
	v_minmax_num_f32 v3, v3, s5, 0xc3e00000
	v_and_b32_e32 v12, 0x7fffffff, v3
	s_wait_xcnt 0x0
	s_delay_alu instid0(VALU_DEP_1)
	v_cmpx_gt_u32_e32 0x43f00000, v12
	s_cbranch_execz .LBB15_110
; %bb.105:                              ;   in Loop: Header=BB15_79 Depth=1
	s_mov_b32 s9, exec_lo
                                        ; implicit-def: $vgpr8
	v_cmpx_lt_u32_e32 0x3c7fffff, v12
	s_xor_b32 s9, exec_lo, s9
; %bb.106:                              ;   in Loop: Header=BB15_79 Depth=1
	v_bfe_u32 v8, v3, 20, 1
	s_delay_alu instid0(VALU_DEP_1) | instskip(NEXT) | instid1(VALU_DEP_1)
	v_add3_u32 v8, v3, v8, 0x407ffff
	v_lshrrev_b32_e32 v8, 20, v8
; %bb.107:                              ;   in Loop: Header=BB15_79 Depth=1
	s_and_not1_saveexec_b32 s9, s9
; %bb.108:                              ;   in Loop: Header=BB15_79 Depth=1
	v_add_f32_e64 v8, 0x46800000, |v3|
; %bb.109:                              ;   in Loop: Header=BB15_79 Depth=1
	s_or_b32 exec_lo, exec_lo, s9
.LBB15_110:                             ;   in Loop: Header=BB15_79 Depth=1
	s_delay_alu instid0(SALU_CYCLE_1) | instskip(SKIP_3) | instid1(VALU_DEP_2)
	s_or_b32 exec_lo, exec_lo, s8
	v_and_b32_e32 v12, 0xffff0000, v6
	v_and_b32_e32 v14, 0xffff0000, v4
	s_mov_b32 s8, exec_lo
	v_mul_f32_e32 v12, v10, v12
	s_delay_alu instid0(VALU_DEP_1) | instskip(SKIP_1) | instid1(VALU_DEP_2)
	v_bfe_u32 v13, v12, 16, 1
	v_cmp_o_f32_e32 vcc_lo, v12, v12
	v_add3_u32 v13, v12, v13, 0x7fff
	s_delay_alu instid0(VALU_DEP_1) | instskip(NEXT) | instid1(VALU_DEP_1)
	v_and_b32_e32 v13, 0xffff0000, v13
	v_cndmask_b32_e32 v12, 0x7fc00000, v13, vcc_lo
	s_delay_alu instid0(VALU_DEP_1) | instskip(NEXT) | instid1(VALU_DEP_1)
	v_mul_f32_e32 v12, v12, v14
	v_bfe_u32 v13, v12, 16, 1
	v_cmp_o_f32_e32 vcc_lo, v12, v12
	s_delay_alu instid0(VALU_DEP_2) | instskip(NEXT) | instid1(VALU_DEP_1)
	v_add3_u32 v13, v12, v13, 0x7fff
	v_and_b32_e32 v13, 0xffff0000, v13
	s_delay_alu instid0(VALU_DEP_1) | instskip(NEXT) | instid1(VALU_DEP_1)
	v_cndmask_b32_e32 v12, 0x7fc00000, v13, vcc_lo
	v_div_scale_f32 v13, null, v11, v11, v12
	s_delay_alu instid0(VALU_DEP_1) | instskip(SKIP_1) | instid1(TRANS32_DEP_1)
	v_rcp_f32_e32 v14, v13
	v_nop
	v_fma_f32 v15, -v13, v14, 1.0
	s_delay_alu instid0(VALU_DEP_1) | instskip(SKIP_1) | instid1(VALU_DEP_1)
	v_fmac_f32_e32 v14, v15, v14
	v_div_scale_f32 v15, vcc_lo, v12, v11, v12
	v_mul_f32_e32 v16, v15, v14
	s_delay_alu instid0(VALU_DEP_1) | instskip(NEXT) | instid1(VALU_DEP_1)
	v_fma_f32 v17, -v13, v16, v15
	v_fmac_f32_e32 v16, v17, v14
	s_delay_alu instid0(VALU_DEP_1) | instskip(NEXT) | instid1(VALU_DEP_1)
	v_fma_f32 v13, -v13, v16, v15
	v_div_fmas_f32 v13, v13, v14, v16
	s_delay_alu instid0(VALU_DEP_1) | instskip(NEXT) | instid1(VALU_DEP_1)
	v_div_fixup_f32 v12, v13, v11, v12
	v_minmax_num_f32 v12, v12, s5, 0xc3e00000
	s_delay_alu instid0(VALU_DEP_1) | instskip(NEXT) | instid1(VALU_DEP_1)
	v_and_b32_e32 v13, 0x7fffffff, v12
	v_cmpx_gt_u32_e32 0x43f00000, v13
	s_cbranch_execz .LBB15_116
; %bb.111:                              ;   in Loop: Header=BB15_79 Depth=1
	s_mov_b32 s9, exec_lo
                                        ; implicit-def: $vgpr9
	v_cmpx_lt_u32_e32 0x3c7fffff, v13
	s_xor_b32 s9, exec_lo, s9
; %bb.112:                              ;   in Loop: Header=BB15_79 Depth=1
	v_bfe_u32 v9, v12, 20, 1
	s_delay_alu instid0(VALU_DEP_1) | instskip(NEXT) | instid1(VALU_DEP_1)
	v_add3_u32 v9, v12, v9, 0x407ffff
	v_lshrrev_b32_e32 v9, 20, v9
; %bb.113:                              ;   in Loop: Header=BB15_79 Depth=1
	s_and_not1_saveexec_b32 s9, s9
; %bb.114:                              ;   in Loop: Header=BB15_79 Depth=1
	v_add_f32_e64 v9, 0x46800000, |v12|
; %bb.115:                              ;   in Loop: Header=BB15_79 Depth=1
	s_or_b32 exec_lo, exec_lo, s9
.LBB15_116:                             ;   in Loop: Header=BB15_79 Depth=1
	s_delay_alu instid0(SALU_CYCLE_1) | instskip(SKIP_3) | instid1(VALU_DEP_2)
	s_or_b32 exec_lo, exec_lo, s8
	v_alignbit_b32 v6, v7, v6, 16
	v_alignbit_b32 v4, v5, v4, 16
	s_mov_b32 s8, exec_lo
	v_and_b32_e32 v6, 0xffff0000, v6
	s_delay_alu instid0(VALU_DEP_2) | instskip(NEXT) | instid1(VALU_DEP_2)
	v_and_b32_e32 v4, 0xffff0000, v4
	v_mul_f32_e32 v6, v10, v6
	s_delay_alu instid0(VALU_DEP_1) | instskip(SKIP_1) | instid1(VALU_DEP_2)
	v_bfe_u32 v13, v6, 16, 1
	v_cmp_o_f32_e32 vcc_lo, v6, v6
	v_add3_u32 v13, v6, v13, 0x7fff
	s_delay_alu instid0(VALU_DEP_1) | instskip(NEXT) | instid1(VALU_DEP_1)
	v_and_b32_e32 v13, 0xffff0000, v13
	v_cndmask_b32_e32 v6, 0x7fc00000, v13, vcc_lo
	s_delay_alu instid0(VALU_DEP_1) | instskip(NEXT) | instid1(VALU_DEP_1)
	v_mul_f32_e32 v4, v6, v4
	v_bfe_u32 v6, v4, 16, 1
	v_cmp_o_f32_e32 vcc_lo, v4, v4
	s_delay_alu instid0(VALU_DEP_2) | instskip(NEXT) | instid1(VALU_DEP_1)
	v_add3_u32 v6, v4, v6, 0x7fff
	v_and_b32_e32 v6, 0xffff0000, v6
	s_delay_alu instid0(VALU_DEP_1) | instskip(NEXT) | instid1(VALU_DEP_1)
	v_cndmask_b32_e32 v4, 0x7fc00000, v6, vcc_lo
	v_div_scale_f32 v6, null, v11, v11, v4
	v_div_scale_f32 v15, vcc_lo, v4, v11, v4
	s_delay_alu instid0(VALU_DEP_2) | instskip(SKIP_1) | instid1(TRANS32_DEP_1)
	v_rcp_f32_e32 v13, v6
	v_nop
	v_fma_f32 v14, -v6, v13, 1.0
	s_delay_alu instid0(VALU_DEP_1) | instskip(NEXT) | instid1(VALU_DEP_1)
	v_fmac_f32_e32 v13, v14, v13
	v_mul_f32_e32 v14, v15, v13
	s_delay_alu instid0(VALU_DEP_1) | instskip(NEXT) | instid1(VALU_DEP_1)
	v_fma_f32 v16, -v6, v14, v15
	v_fmac_f32_e32 v14, v16, v13
	s_delay_alu instid0(VALU_DEP_1) | instskip(NEXT) | instid1(VALU_DEP_1)
	v_fma_f32 v6, -v6, v14, v15
	v_div_fmas_f32 v6, v6, v13, v14
	v_mov_b32_e32 v13, 0x7f
	s_delay_alu instid0(VALU_DEP_2) | instskip(NEXT) | instid1(VALU_DEP_1)
	v_div_fixup_f32 v4, v6, v11, v4
	v_minmax_num_f32 v6, v4, s5, 0xc3e00000
	v_mov_b32_e32 v4, 0x7f
	s_delay_alu instid0(VALU_DEP_2) | instskip(NEXT) | instid1(VALU_DEP_1)
	v_and_b32_e32 v14, 0x7fffffff, v6
	v_cmpx_gt_u32_e32 0x43f00000, v14
	s_cbranch_execz .LBB15_122
; %bb.117:                              ;   in Loop: Header=BB15_79 Depth=1
	s_mov_b32 s9, exec_lo
                                        ; implicit-def: $vgpr13
	v_cmpx_lt_u32_e32 0x3c7fffff, v14
	s_xor_b32 s9, exec_lo, s9
; %bb.118:                              ;   in Loop: Header=BB15_79 Depth=1
	v_bfe_u32 v13, v6, 20, 1
	s_delay_alu instid0(VALU_DEP_1) | instskip(NEXT) | instid1(VALU_DEP_1)
	v_add3_u32 v13, v6, v13, 0x407ffff
	v_lshrrev_b32_e32 v13, 20, v13
; %bb.119:                              ;   in Loop: Header=BB15_79 Depth=1
	s_and_not1_saveexec_b32 s9, s9
; %bb.120:                              ;   in Loop: Header=BB15_79 Depth=1
	v_add_f32_e64 v13, 0x46800000, |v6|
; %bb.121:                              ;   in Loop: Header=BB15_79 Depth=1
	s_or_b32 exec_lo, exec_lo, s9
.LBB15_122:                             ;   in Loop: Header=BB15_79 Depth=1
	s_delay_alu instid0(SALU_CYCLE_1) | instskip(SKIP_3) | instid1(VALU_DEP_2)
	s_or_b32 exec_lo, exec_lo, s8
	v_and_b32_e32 v7, 0xffff0000, v7
	v_and_b32_e32 v5, 0xffff0000, v5
	s_mov_b32 s8, exec_lo
	v_mul_f32_e32 v7, v10, v7
	s_delay_alu instid0(VALU_DEP_1) | instskip(SKIP_1) | instid1(VALU_DEP_2)
	v_bfe_u32 v14, v7, 16, 1
	v_cmp_o_f32_e32 vcc_lo, v7, v7
	v_add3_u32 v14, v7, v14, 0x7fff
	s_delay_alu instid0(VALU_DEP_1) | instskip(NEXT) | instid1(VALU_DEP_1)
	v_and_b32_e32 v14, 0xffff0000, v14
	v_cndmask_b32_e32 v7, 0x7fc00000, v14, vcc_lo
	s_delay_alu instid0(VALU_DEP_1) | instskip(NEXT) | instid1(VALU_DEP_1)
	v_mul_f32_e32 v5, v7, v5
	v_bfe_u32 v7, v5, 16, 1
	v_cmp_o_f32_e32 vcc_lo, v5, v5
	s_delay_alu instid0(VALU_DEP_2) | instskip(NEXT) | instid1(VALU_DEP_1)
	v_add3_u32 v7, v5, v7, 0x7fff
	v_and_b32_e32 v7, 0xffff0000, v7
	s_delay_alu instid0(VALU_DEP_1) | instskip(NEXT) | instid1(VALU_DEP_1)
	v_cndmask_b32_e32 v5, 0x7fc00000, v7, vcc_lo
	v_div_scale_f32 v7, null, v11, v11, v5
	s_delay_alu instid0(VALU_DEP_1) | instskip(SKIP_1) | instid1(TRANS32_DEP_1)
	v_rcp_f32_e32 v14, v7
	v_nop
	v_fma_f32 v15, -v7, v14, 1.0
	s_delay_alu instid0(VALU_DEP_1) | instskip(SKIP_1) | instid1(VALU_DEP_1)
	v_fmac_f32_e32 v14, v15, v14
	v_div_scale_f32 v15, vcc_lo, v5, v11, v5
	v_mul_f32_e32 v16, v15, v14
	s_delay_alu instid0(VALU_DEP_1) | instskip(NEXT) | instid1(VALU_DEP_1)
	v_fma_f32 v17, -v7, v16, v15
	v_fmac_f32_e32 v16, v17, v14
	s_delay_alu instid0(VALU_DEP_1) | instskip(NEXT) | instid1(VALU_DEP_1)
	v_fma_f32 v7, -v7, v16, v15
	v_div_fmas_f32 v7, v7, v14, v16
	s_delay_alu instid0(VALU_DEP_1) | instskip(NEXT) | instid1(VALU_DEP_1)
	v_div_fixup_f32 v5, v7, v11, v5
	v_minmax_num_f32 v5, v5, s5, 0xc3e00000
	s_delay_alu instid0(VALU_DEP_1) | instskip(NEXT) | instid1(VALU_DEP_1)
	v_and_b32_e32 v7, 0x7fffffff, v5
	v_cmpx_gt_u32_e32 0x43f00000, v7
	s_cbranch_execz .LBB15_128
; %bb.123:                              ;   in Loop: Header=BB15_79 Depth=1
	s_mov_b32 s9, exec_lo
                                        ; implicit-def: $vgpr4
	v_cmpx_lt_u32_e32 0x3c7fffff, v7
	s_xor_b32 s9, exec_lo, s9
; %bb.124:                              ;   in Loop: Header=BB15_79 Depth=1
	v_bfe_u32 v4, v5, 20, 1
	s_delay_alu instid0(VALU_DEP_1) | instskip(NEXT) | instid1(VALU_DEP_1)
	v_add3_u32 v4, v5, v4, 0x407ffff
	v_lshrrev_b32_e32 v4, 20, v4
; %bb.125:                              ;   in Loop: Header=BB15_79 Depth=1
	s_and_not1_saveexec_b32 s9, s9
; %bb.126:                              ;   in Loop: Header=BB15_79 Depth=1
	v_add_f32_e64 v4, 0x46800000, |v5|
; %bb.127:                              ;   in Loop: Header=BB15_79 Depth=1
	s_or_b32 exec_lo, exec_lo, s9
.LBB15_128:                             ;   in Loop: Header=BB15_79 Depth=1
	s_delay_alu instid0(SALU_CYCLE_1) | instskip(SKIP_1) | instid1(VALU_DEP_2)
	s_or_b32 exec_lo, exec_lo, s8
	v_dual_lshrrev_b32 v6, 24, v6 :: v_dual_lshrrev_b32 v7, 24, v12
	v_dual_lshrrev_b32 v12, 24, v3 :: v_dual_lshlrev_b32 v4, 24, v4
	v_and_b32_e32 v5, 0x80000000, v5
	s_delay_alu instid0(VALU_DEP_3) | instskip(NEXT) | instid1(VALU_DEP_4)
	v_and_b32_e32 v6, 0x80, v6
	v_and_b32_e32 v7, 0x80, v7
	;; [unrolled: 1-line block ×3, first 2 shown]
	s_mov_b32 s9, -1
	s_mov_b32 s8, exec_lo
	v_and_or_b32 v6, 0xff, v13, v6
	v_and_or_b32 v7, 0xff, v9, v7
	;; [unrolled: 1-line block ×3, first 2 shown]
	s_delay_alu instid0(VALU_DEP_3) | instskip(NEXT) | instid1(VALU_DEP_3)
	v_dual_mov_b32 v3, v1 :: v_dual_lshlrev_b32 v6, 16, v6
	v_lshlrev_b32_e32 v9, 8, v7
	s_delay_alu instid0(VALU_DEP_2) | instskip(SKIP_1) | instid1(VALU_DEP_4)
	v_or3_b32 v5, v5, v4, v6
	v_add_nc_u32_e32 v4, s2, v0
	v_lshl_add_u64 v[6:7], v[2:3], 2, s[0:1]
	s_delay_alu instid0(VALU_DEP_3)
	v_or3_b32 v3, v5, v9, v8
	global_store_b32 v[6:7], v3, off
	s_wait_xcnt 0x0
	v_cmpx_gt_u32_e64 s11, v4
	s_cbranch_execz .LBB15_77
; %bb.129:                              ;   in Loop: Header=BB15_79 Depth=1
	s_clause 0x1
	global_load_b64 v[8:9], v4, s[16:17] scale_offset
	global_load_b64 v[6:7], v4, s[18:19] scale_offset
	s_mov_b32 s9, exec_lo
	s_wait_loadcnt 0x0
	v_dual_lshlrev_b32 v3, 16, v8 :: v_dual_lshlrev_b32 v12, 16, v6
	s_delay_alu instid0(VALU_DEP_1) | instskip(NEXT) | instid1(VALU_DEP_1)
	v_mul_f32_e32 v3, v10, v3
	v_bfe_u32 v5, v3, 16, 1
	v_cmp_o_f32_e32 vcc_lo, v3, v3
	s_delay_alu instid0(VALU_DEP_2) | instskip(NEXT) | instid1(VALU_DEP_1)
	v_add3_u32 v5, v3, v5, 0x7fff
	v_and_b32_e32 v5, 0xffff0000, v5
	s_delay_alu instid0(VALU_DEP_1) | instskip(NEXT) | instid1(VALU_DEP_1)
	v_cndmask_b32_e32 v3, 0x7fc00000, v5, vcc_lo
	v_mul_f32_e32 v3, v3, v12
	s_delay_alu instid0(VALU_DEP_1) | instskip(SKIP_1) | instid1(VALU_DEP_2)
	v_bfe_u32 v5, v3, 16, 1
	v_cmp_o_f32_e32 vcc_lo, v3, v3
	v_add3_u32 v5, v3, v5, 0x7fff
	s_delay_alu instid0(VALU_DEP_1) | instskip(NEXT) | instid1(VALU_DEP_1)
	v_and_b32_e32 v5, 0xffff0000, v5
	v_cndmask_b32_e32 v3, 0x7fc00000, v5, vcc_lo
	s_delay_alu instid0(VALU_DEP_1) | instskip(SKIP_1) | instid1(VALU_DEP_2)
	v_div_scale_f32 v5, null, v11, v11, v3
	v_div_scale_f32 v14, vcc_lo, v3, v11, v3
	v_rcp_f32_e32 v12, v5
	v_nop
	s_delay_alu instid0(TRANS32_DEP_1) | instskip(NEXT) | instid1(VALU_DEP_1)
	v_fma_f32 v13, -v5, v12, 1.0
	v_fmac_f32_e32 v12, v13, v12
	s_delay_alu instid0(VALU_DEP_1) | instskip(NEXT) | instid1(VALU_DEP_1)
	v_mul_f32_e32 v13, v14, v12
	v_fma_f32 v15, -v5, v13, v14
	s_delay_alu instid0(VALU_DEP_1) | instskip(NEXT) | instid1(VALU_DEP_1)
	v_fmac_f32_e32 v13, v15, v12
	v_fma_f32 v5, -v5, v13, v14
	s_delay_alu instid0(VALU_DEP_1) | instskip(SKIP_1) | instid1(VALU_DEP_2)
	v_div_fmas_f32 v5, v5, v12, v13
	v_mov_b32_e32 v12, 0x7f
	v_div_fixup_f32 v3, v5, v11, v3
	v_mov_b32_e32 v5, 0x7f
	s_delay_alu instid0(VALU_DEP_2) | instskip(NEXT) | instid1(VALU_DEP_1)
	v_minmax_num_f32 v3, v3, s5, 0xc3e00000
	v_and_b32_e32 v13, 0x7fffffff, v3
	s_wait_xcnt 0x0
	s_delay_alu instid0(VALU_DEP_1)
	v_cmpx_gt_u32_e32 0x43f00000, v13
	s_cbranch_execz .LBB15_135
; %bb.130:                              ;   in Loop: Header=BB15_79 Depth=1
	s_mov_b32 s10, exec_lo
                                        ; implicit-def: $vgpr5
	v_cmpx_lt_u32_e32 0x3c7fffff, v13
	s_xor_b32 s10, exec_lo, s10
; %bb.131:                              ;   in Loop: Header=BB15_79 Depth=1
	v_bfe_u32 v5, v3, 20, 1
	s_delay_alu instid0(VALU_DEP_1) | instskip(NEXT) | instid1(VALU_DEP_1)
	v_add3_u32 v5, v3, v5, 0x407ffff
	v_lshrrev_b32_e32 v5, 20, v5
; %bb.132:                              ;   in Loop: Header=BB15_79 Depth=1
	s_and_not1_saveexec_b32 s10, s10
; %bb.133:                              ;   in Loop: Header=BB15_79 Depth=1
	v_add_f32_e64 v5, 0x46800000, |v3|
; %bb.134:                              ;   in Loop: Header=BB15_79 Depth=1
	s_or_b32 exec_lo, exec_lo, s10
.LBB15_135:                             ;   in Loop: Header=BB15_79 Depth=1
	s_delay_alu instid0(SALU_CYCLE_1) | instskip(SKIP_3) | instid1(VALU_DEP_2)
	s_or_b32 exec_lo, exec_lo, s9
	v_and_b32_e32 v13, 0xffff0000, v8
	v_and_b32_e32 v15, 0xffff0000, v6
	s_mov_b32 s9, exec_lo
	v_mul_f32_e32 v13, v10, v13
	s_delay_alu instid0(VALU_DEP_1) | instskip(SKIP_1) | instid1(VALU_DEP_2)
	v_bfe_u32 v14, v13, 16, 1
	v_cmp_o_f32_e32 vcc_lo, v13, v13
	v_add3_u32 v14, v13, v14, 0x7fff
	s_delay_alu instid0(VALU_DEP_1) | instskip(NEXT) | instid1(VALU_DEP_1)
	v_and_b32_e32 v14, 0xffff0000, v14
	v_cndmask_b32_e32 v13, 0x7fc00000, v14, vcc_lo
	s_delay_alu instid0(VALU_DEP_1) | instskip(NEXT) | instid1(VALU_DEP_1)
	v_mul_f32_e32 v13, v13, v15
	v_bfe_u32 v14, v13, 16, 1
	v_cmp_o_f32_e32 vcc_lo, v13, v13
	s_delay_alu instid0(VALU_DEP_2) | instskip(NEXT) | instid1(VALU_DEP_1)
	v_add3_u32 v14, v13, v14, 0x7fff
	v_and_b32_e32 v14, 0xffff0000, v14
	s_delay_alu instid0(VALU_DEP_1) | instskip(NEXT) | instid1(VALU_DEP_1)
	v_cndmask_b32_e32 v13, 0x7fc00000, v14, vcc_lo
	v_div_scale_f32 v14, null, v11, v11, v13
	s_delay_alu instid0(VALU_DEP_1) | instskip(SKIP_1) | instid1(TRANS32_DEP_1)
	v_rcp_f32_e32 v15, v14
	v_nop
	v_fma_f32 v16, -v14, v15, 1.0
	s_delay_alu instid0(VALU_DEP_1) | instskip(SKIP_1) | instid1(VALU_DEP_1)
	v_fmac_f32_e32 v15, v16, v15
	v_div_scale_f32 v16, vcc_lo, v13, v11, v13
	v_mul_f32_e32 v17, v16, v15
	s_delay_alu instid0(VALU_DEP_1) | instskip(NEXT) | instid1(VALU_DEP_1)
	v_fma_f32 v18, -v14, v17, v16
	v_fmac_f32_e32 v17, v18, v15
	s_delay_alu instid0(VALU_DEP_1) | instskip(NEXT) | instid1(VALU_DEP_1)
	v_fma_f32 v14, -v14, v17, v16
	v_div_fmas_f32 v14, v14, v15, v17
	s_delay_alu instid0(VALU_DEP_1) | instskip(NEXT) | instid1(VALU_DEP_1)
	v_div_fixup_f32 v13, v14, v11, v13
	v_minmax_num_f32 v13, v13, s5, 0xc3e00000
	s_delay_alu instid0(VALU_DEP_1) | instskip(NEXT) | instid1(VALU_DEP_1)
	v_and_b32_e32 v14, 0x7fffffff, v13
	v_cmpx_gt_u32_e32 0x43f00000, v14
	s_cbranch_execz .LBB15_141
; %bb.136:                              ;   in Loop: Header=BB15_79 Depth=1
	s_mov_b32 s10, exec_lo
                                        ; implicit-def: $vgpr12
	v_cmpx_lt_u32_e32 0x3c7fffff, v14
	s_xor_b32 s10, exec_lo, s10
; %bb.137:                              ;   in Loop: Header=BB15_79 Depth=1
	v_bfe_u32 v12, v13, 20, 1
	s_delay_alu instid0(VALU_DEP_1) | instskip(NEXT) | instid1(VALU_DEP_1)
	v_add3_u32 v12, v13, v12, 0x407ffff
	v_lshrrev_b32_e32 v12, 20, v12
; %bb.138:                              ;   in Loop: Header=BB15_79 Depth=1
	s_and_not1_saveexec_b32 s10, s10
; %bb.139:                              ;   in Loop: Header=BB15_79 Depth=1
	v_add_f32_e64 v12, 0x46800000, |v13|
; %bb.140:                              ;   in Loop: Header=BB15_79 Depth=1
	s_or_b32 exec_lo, exec_lo, s10
.LBB15_141:                             ;   in Loop: Header=BB15_79 Depth=1
	s_delay_alu instid0(SALU_CYCLE_1) | instskip(SKIP_3) | instid1(VALU_DEP_2)
	s_or_b32 exec_lo, exec_lo, s9
	v_alignbit_b32 v8, v9, v8, 16
	v_alignbit_b32 v6, v7, v6, 16
	s_mov_b32 s9, exec_lo
	v_and_b32_e32 v8, 0xffff0000, v8
	s_delay_alu instid0(VALU_DEP_2) | instskip(NEXT) | instid1(VALU_DEP_2)
	v_and_b32_e32 v6, 0xffff0000, v6
	v_mul_f32_e32 v8, v10, v8
	s_delay_alu instid0(VALU_DEP_1) | instskip(SKIP_1) | instid1(VALU_DEP_2)
	v_bfe_u32 v14, v8, 16, 1
	v_cmp_o_f32_e32 vcc_lo, v8, v8
	v_add3_u32 v14, v8, v14, 0x7fff
	s_delay_alu instid0(VALU_DEP_1) | instskip(NEXT) | instid1(VALU_DEP_1)
	v_and_b32_e32 v14, 0xffff0000, v14
	v_cndmask_b32_e32 v8, 0x7fc00000, v14, vcc_lo
	s_delay_alu instid0(VALU_DEP_1) | instskip(NEXT) | instid1(VALU_DEP_1)
	v_mul_f32_e32 v6, v8, v6
	v_bfe_u32 v8, v6, 16, 1
	v_cmp_o_f32_e32 vcc_lo, v6, v6
	s_delay_alu instid0(VALU_DEP_2) | instskip(NEXT) | instid1(VALU_DEP_1)
	v_add3_u32 v8, v6, v8, 0x7fff
	v_and_b32_e32 v8, 0xffff0000, v8
	s_delay_alu instid0(VALU_DEP_1) | instskip(NEXT) | instid1(VALU_DEP_1)
	v_cndmask_b32_e32 v6, 0x7fc00000, v8, vcc_lo
	v_div_scale_f32 v8, null, v11, v11, v6
	v_div_scale_f32 v16, vcc_lo, v6, v11, v6
	s_delay_alu instid0(VALU_DEP_2) | instskip(SKIP_1) | instid1(TRANS32_DEP_1)
	v_rcp_f32_e32 v14, v8
	v_nop
	v_fma_f32 v15, -v8, v14, 1.0
	s_delay_alu instid0(VALU_DEP_1) | instskip(NEXT) | instid1(VALU_DEP_1)
	v_fmac_f32_e32 v14, v15, v14
	v_mul_f32_e32 v15, v16, v14
	s_delay_alu instid0(VALU_DEP_1) | instskip(NEXT) | instid1(VALU_DEP_1)
	v_fma_f32 v17, -v8, v15, v16
	v_fmac_f32_e32 v15, v17, v14
	s_delay_alu instid0(VALU_DEP_1) | instskip(NEXT) | instid1(VALU_DEP_1)
	v_fma_f32 v8, -v8, v15, v16
	v_div_fmas_f32 v8, v8, v14, v15
	v_mov_b32_e32 v14, 0x7f
	s_delay_alu instid0(VALU_DEP_2) | instskip(NEXT) | instid1(VALU_DEP_1)
	v_div_fixup_f32 v6, v8, v11, v6
	v_minmax_num_f32 v8, v6, s5, 0xc3e00000
	v_mov_b32_e32 v6, 0x7f
	s_delay_alu instid0(VALU_DEP_2) | instskip(NEXT) | instid1(VALU_DEP_1)
	v_and_b32_e32 v15, 0x7fffffff, v8
	v_cmpx_gt_u32_e32 0x43f00000, v15
	s_cbranch_execz .LBB15_147
; %bb.142:                              ;   in Loop: Header=BB15_79 Depth=1
	s_mov_b32 s10, exec_lo
                                        ; implicit-def: $vgpr14
	v_cmpx_lt_u32_e32 0x3c7fffff, v15
	s_xor_b32 s10, exec_lo, s10
; %bb.143:                              ;   in Loop: Header=BB15_79 Depth=1
	v_bfe_u32 v14, v8, 20, 1
	s_delay_alu instid0(VALU_DEP_1) | instskip(NEXT) | instid1(VALU_DEP_1)
	v_add3_u32 v14, v8, v14, 0x407ffff
	v_lshrrev_b32_e32 v14, 20, v14
; %bb.144:                              ;   in Loop: Header=BB15_79 Depth=1
	s_and_not1_saveexec_b32 s10, s10
; %bb.145:                              ;   in Loop: Header=BB15_79 Depth=1
	v_add_f32_e64 v14, 0x46800000, |v8|
; %bb.146:                              ;   in Loop: Header=BB15_79 Depth=1
	s_or_b32 exec_lo, exec_lo, s10
.LBB15_147:                             ;   in Loop: Header=BB15_79 Depth=1
	s_delay_alu instid0(SALU_CYCLE_1) | instskip(SKIP_3) | instid1(VALU_DEP_2)
	s_or_b32 exec_lo, exec_lo, s9
	v_and_b32_e32 v9, 0xffff0000, v9
	v_and_b32_e32 v7, 0xffff0000, v7
	s_mov_b32 s9, exec_lo
	v_mul_f32_e32 v9, v10, v9
	s_delay_alu instid0(VALU_DEP_1) | instskip(SKIP_1) | instid1(VALU_DEP_2)
	v_bfe_u32 v15, v9, 16, 1
	v_cmp_o_f32_e32 vcc_lo, v9, v9
	v_add3_u32 v15, v9, v15, 0x7fff
	s_delay_alu instid0(VALU_DEP_1) | instskip(NEXT) | instid1(VALU_DEP_1)
	v_and_b32_e32 v15, 0xffff0000, v15
	v_cndmask_b32_e32 v9, 0x7fc00000, v15, vcc_lo
	s_delay_alu instid0(VALU_DEP_1) | instskip(NEXT) | instid1(VALU_DEP_1)
	v_mul_f32_e32 v7, v9, v7
	v_bfe_u32 v9, v7, 16, 1
	v_cmp_o_f32_e32 vcc_lo, v7, v7
	s_delay_alu instid0(VALU_DEP_2) | instskip(NEXT) | instid1(VALU_DEP_1)
	v_add3_u32 v9, v7, v9, 0x7fff
	v_and_b32_e32 v9, 0xffff0000, v9
	s_delay_alu instid0(VALU_DEP_1) | instskip(NEXT) | instid1(VALU_DEP_1)
	v_cndmask_b32_e32 v7, 0x7fc00000, v9, vcc_lo
	v_div_scale_f32 v9, null, v11, v11, v7
	s_delay_alu instid0(VALU_DEP_1) | instskip(SKIP_1) | instid1(TRANS32_DEP_1)
	v_rcp_f32_e32 v15, v9
	v_nop
	v_fma_f32 v16, -v9, v15, 1.0
	s_delay_alu instid0(VALU_DEP_1) | instskip(SKIP_1) | instid1(VALU_DEP_1)
	v_fmac_f32_e32 v15, v16, v15
	v_div_scale_f32 v16, vcc_lo, v7, v11, v7
	v_mul_f32_e32 v17, v16, v15
	s_delay_alu instid0(VALU_DEP_1) | instskip(NEXT) | instid1(VALU_DEP_1)
	v_fma_f32 v18, -v9, v17, v16
	v_fmac_f32_e32 v17, v18, v15
	s_delay_alu instid0(VALU_DEP_1) | instskip(NEXT) | instid1(VALU_DEP_1)
	v_fma_f32 v9, -v9, v17, v16
	v_div_fmas_f32 v9, v9, v15, v17
	s_delay_alu instid0(VALU_DEP_1) | instskip(NEXT) | instid1(VALU_DEP_1)
	v_div_fixup_f32 v7, v9, v11, v7
	v_minmax_num_f32 v7, v7, s5, 0xc3e00000
	s_delay_alu instid0(VALU_DEP_1) | instskip(NEXT) | instid1(VALU_DEP_1)
	v_and_b32_e32 v9, 0x7fffffff, v7
	v_cmpx_gt_u32_e32 0x43f00000, v9
	s_cbranch_execz .LBB15_153
; %bb.148:                              ;   in Loop: Header=BB15_79 Depth=1
	s_mov_b32 s10, exec_lo
                                        ; implicit-def: $vgpr6
	v_cmpx_lt_u32_e32 0x3c7fffff, v9
	s_xor_b32 s10, exec_lo, s10
; %bb.149:                              ;   in Loop: Header=BB15_79 Depth=1
	v_bfe_u32 v6, v7, 20, 1
	s_delay_alu instid0(VALU_DEP_1) | instskip(NEXT) | instid1(VALU_DEP_1)
	v_add3_u32 v6, v7, v6, 0x407ffff
	v_lshrrev_b32_e32 v6, 20, v6
; %bb.150:                              ;   in Loop: Header=BB15_79 Depth=1
	s_and_not1_saveexec_b32 s10, s10
; %bb.151:                              ;   in Loop: Header=BB15_79 Depth=1
	v_add_f32_e64 v6, 0x46800000, |v7|
; %bb.152:                              ;   in Loop: Header=BB15_79 Depth=1
	s_or_b32 exec_lo, exec_lo, s10
.LBB15_153:                             ;   in Loop: Header=BB15_79 Depth=1
	s_delay_alu instid0(SALU_CYCLE_1) | instskip(SKIP_1) | instid1(VALU_DEP_2)
	s_or_b32 exec_lo, exec_lo, s9
	v_dual_lshrrev_b32 v8, 24, v8 :: v_dual_lshrrev_b32 v9, 24, v13
	v_dual_lshrrev_b32 v3, 24, v3 :: v_dual_lshlrev_b32 v6, 24, v6
	v_and_b32_e32 v7, 0x80000000, v7
	s_delay_alu instid0(VALU_DEP_3) | instskip(NEXT) | instid1(VALU_DEP_4)
	v_and_b32_e32 v8, 0x80, v8
	v_and_b32_e32 v9, 0x80, v9
	s_mov_b32 s10, -1
	s_mov_b32 s9, exec_lo
	v_add_nc_u32_e32 v0, s3, v0
	v_and_or_b32 v8, 0xff, v14, v8
	v_and_or_b32 v9, 0xff, v12, v9
	v_and_b32_e32 v12, 0xff, v5
	s_delay_alu instid0(VALU_DEP_3) | instskip(NEXT) | instid1(VALU_DEP_3)
	v_dual_mov_b32 v5, v1 :: v_dual_lshlrev_b32 v8, 16, v8
	v_lshlrev_b32_e32 v9, 8, v9
	s_delay_alu instid0(VALU_DEP_3) | instskip(NEXT) | instid1(VALU_DEP_3)
	v_and_or_b32 v3, 0x80, v3, v12
	v_lshl_add_u64 v[4:5], v[4:5], 2, s[0:1]
	s_delay_alu instid0(VALU_DEP_4) | instskip(NEXT) | instid1(VALU_DEP_1)
	v_or3_b32 v6, v7, v6, v8
	v_or3_b32 v3, v6, v9, v3
	global_store_b32 v[4:5], v3, off
	s_wait_xcnt 0x0
	v_cmpx_gt_u32_e64 s11, v0
	s_cbranch_execz .LBB15_76
; %bb.154:                              ;   in Loop: Header=BB15_79 Depth=1
	s_clause 0x1
	global_load_b64 v[6:7], v0, s[16:17] scale_offset
	global_load_b64 v[4:5], v0, s[18:19] scale_offset
	s_mov_b32 s10, exec_lo
	s_wait_loadcnt 0x0
	v_dual_lshlrev_b32 v3, 16, v6 :: v_dual_lshlrev_b32 v9, 16, v4
	s_delay_alu instid0(VALU_DEP_1) | instskip(NEXT) | instid1(VALU_DEP_1)
	v_mul_f32_e32 v3, v10, v3
	v_bfe_u32 v8, v3, 16, 1
	v_cmp_o_f32_e32 vcc_lo, v3, v3
	s_delay_alu instid0(VALU_DEP_2) | instskip(NEXT) | instid1(VALU_DEP_1)
	v_add3_u32 v8, v3, v8, 0x7fff
	v_and_b32_e32 v8, 0xffff0000, v8
	s_delay_alu instid0(VALU_DEP_1) | instskip(NEXT) | instid1(VALU_DEP_1)
	v_cndmask_b32_e32 v3, 0x7fc00000, v8, vcc_lo
	v_mul_f32_e32 v3, v3, v9
	s_delay_alu instid0(VALU_DEP_1) | instskip(SKIP_1) | instid1(VALU_DEP_2)
	v_bfe_u32 v8, v3, 16, 1
	v_cmp_o_f32_e32 vcc_lo, v3, v3
	v_add3_u32 v8, v3, v8, 0x7fff
	s_delay_alu instid0(VALU_DEP_1) | instskip(NEXT) | instid1(VALU_DEP_1)
	v_and_b32_e32 v8, 0xffff0000, v8
	v_cndmask_b32_e32 v3, 0x7fc00000, v8, vcc_lo
	s_delay_alu instid0(VALU_DEP_1) | instskip(SKIP_1) | instid1(VALU_DEP_2)
	v_div_scale_f32 v8, null, v11, v11, v3
	v_div_scale_f32 v13, vcc_lo, v3, v11, v3
	v_rcp_f32_e32 v9, v8
	v_nop
	s_delay_alu instid0(TRANS32_DEP_1) | instskip(NEXT) | instid1(VALU_DEP_1)
	v_fma_f32 v12, -v8, v9, 1.0
	v_fmac_f32_e32 v9, v12, v9
	s_delay_alu instid0(VALU_DEP_1) | instskip(NEXT) | instid1(VALU_DEP_1)
	v_mul_f32_e32 v12, v13, v9
	v_fma_f32 v14, -v8, v12, v13
	s_delay_alu instid0(VALU_DEP_1) | instskip(NEXT) | instid1(VALU_DEP_1)
	v_fmac_f32_e32 v12, v14, v9
	v_fma_f32 v8, -v8, v12, v13
	s_delay_alu instid0(VALU_DEP_1) | instskip(SKIP_1) | instid1(VALU_DEP_2)
	v_div_fmas_f32 v8, v8, v9, v12
	v_mov_b32_e32 v9, 0x7f
	v_div_fixup_f32 v3, v8, v11, v3
	v_mov_b32_e32 v8, 0x7f
	s_delay_alu instid0(VALU_DEP_2) | instskip(NEXT) | instid1(VALU_DEP_1)
	v_minmax_num_f32 v3, v3, s5, 0xc3e00000
	v_and_b32_e32 v12, 0x7fffffff, v3
	s_wait_xcnt 0x0
	s_delay_alu instid0(VALU_DEP_1)
	v_cmpx_gt_u32_e32 0x43f00000, v12
	s_cbranch_execz .LBB15_160
; %bb.155:                              ;   in Loop: Header=BB15_79 Depth=1
	s_mov_b32 s12, exec_lo
                                        ; implicit-def: $vgpr8
	v_cmpx_lt_u32_e32 0x3c7fffff, v12
	s_xor_b32 s12, exec_lo, s12
; %bb.156:                              ;   in Loop: Header=BB15_79 Depth=1
	v_bfe_u32 v8, v3, 20, 1
	s_delay_alu instid0(VALU_DEP_1) | instskip(NEXT) | instid1(VALU_DEP_1)
	v_add3_u32 v8, v3, v8, 0x407ffff
	v_lshrrev_b32_e32 v8, 20, v8
; %bb.157:                              ;   in Loop: Header=BB15_79 Depth=1
	s_and_not1_saveexec_b32 s12, s12
; %bb.158:                              ;   in Loop: Header=BB15_79 Depth=1
	v_add_f32_e64 v8, 0x46800000, |v3|
; %bb.159:                              ;   in Loop: Header=BB15_79 Depth=1
	s_or_b32 exec_lo, exec_lo, s12
.LBB15_160:                             ;   in Loop: Header=BB15_79 Depth=1
	s_delay_alu instid0(SALU_CYCLE_1) | instskip(SKIP_3) | instid1(VALU_DEP_2)
	s_or_b32 exec_lo, exec_lo, s10
	v_and_b32_e32 v12, 0xffff0000, v6
	v_and_b32_e32 v14, 0xffff0000, v4
	s_mov_b32 s10, exec_lo
	v_mul_f32_e32 v12, v10, v12
	s_delay_alu instid0(VALU_DEP_1) | instskip(SKIP_1) | instid1(VALU_DEP_2)
	v_bfe_u32 v13, v12, 16, 1
	v_cmp_o_f32_e32 vcc_lo, v12, v12
	v_add3_u32 v13, v12, v13, 0x7fff
	s_delay_alu instid0(VALU_DEP_1) | instskip(NEXT) | instid1(VALU_DEP_1)
	v_and_b32_e32 v13, 0xffff0000, v13
	v_cndmask_b32_e32 v12, 0x7fc00000, v13, vcc_lo
	s_delay_alu instid0(VALU_DEP_1) | instskip(NEXT) | instid1(VALU_DEP_1)
	v_mul_f32_e32 v12, v12, v14
	v_bfe_u32 v13, v12, 16, 1
	v_cmp_o_f32_e32 vcc_lo, v12, v12
	s_delay_alu instid0(VALU_DEP_2) | instskip(NEXT) | instid1(VALU_DEP_1)
	v_add3_u32 v13, v12, v13, 0x7fff
	v_and_b32_e32 v13, 0xffff0000, v13
	s_delay_alu instid0(VALU_DEP_1) | instskip(NEXT) | instid1(VALU_DEP_1)
	v_cndmask_b32_e32 v12, 0x7fc00000, v13, vcc_lo
	v_div_scale_f32 v13, null, v11, v11, v12
	s_delay_alu instid0(VALU_DEP_1) | instskip(SKIP_1) | instid1(TRANS32_DEP_1)
	v_rcp_f32_e32 v14, v13
	v_nop
	v_fma_f32 v15, -v13, v14, 1.0
	s_delay_alu instid0(VALU_DEP_1) | instskip(SKIP_1) | instid1(VALU_DEP_1)
	v_fmac_f32_e32 v14, v15, v14
	v_div_scale_f32 v15, vcc_lo, v12, v11, v12
	v_mul_f32_e32 v16, v15, v14
	s_delay_alu instid0(VALU_DEP_1) | instskip(NEXT) | instid1(VALU_DEP_1)
	v_fma_f32 v17, -v13, v16, v15
	v_fmac_f32_e32 v16, v17, v14
	s_delay_alu instid0(VALU_DEP_1) | instskip(NEXT) | instid1(VALU_DEP_1)
	v_fma_f32 v13, -v13, v16, v15
	v_div_fmas_f32 v13, v13, v14, v16
	s_delay_alu instid0(VALU_DEP_1) | instskip(NEXT) | instid1(VALU_DEP_1)
	v_div_fixup_f32 v12, v13, v11, v12
	v_minmax_num_f32 v12, v12, s5, 0xc3e00000
	s_delay_alu instid0(VALU_DEP_1) | instskip(NEXT) | instid1(VALU_DEP_1)
	v_and_b32_e32 v13, 0x7fffffff, v12
	v_cmpx_gt_u32_e32 0x43f00000, v13
	s_cbranch_execz .LBB15_166
; %bb.161:                              ;   in Loop: Header=BB15_79 Depth=1
	s_mov_b32 s12, exec_lo
                                        ; implicit-def: $vgpr9
	v_cmpx_lt_u32_e32 0x3c7fffff, v13
	s_xor_b32 s12, exec_lo, s12
; %bb.162:                              ;   in Loop: Header=BB15_79 Depth=1
	v_bfe_u32 v9, v12, 20, 1
	s_delay_alu instid0(VALU_DEP_1) | instskip(NEXT) | instid1(VALU_DEP_1)
	v_add3_u32 v9, v12, v9, 0x407ffff
	v_lshrrev_b32_e32 v9, 20, v9
; %bb.163:                              ;   in Loop: Header=BB15_79 Depth=1
	s_and_not1_saveexec_b32 s12, s12
; %bb.164:                              ;   in Loop: Header=BB15_79 Depth=1
	v_add_f32_e64 v9, 0x46800000, |v12|
; %bb.165:                              ;   in Loop: Header=BB15_79 Depth=1
	s_or_b32 exec_lo, exec_lo, s12
.LBB15_166:                             ;   in Loop: Header=BB15_79 Depth=1
	s_delay_alu instid0(SALU_CYCLE_1) | instskip(SKIP_3) | instid1(VALU_DEP_2)
	s_or_b32 exec_lo, exec_lo, s10
	v_alignbit_b32 v6, v7, v6, 16
	v_alignbit_b32 v4, v5, v4, 16
	s_mov_b32 s10, exec_lo
	v_and_b32_e32 v6, 0xffff0000, v6
	s_delay_alu instid0(VALU_DEP_2) | instskip(NEXT) | instid1(VALU_DEP_2)
	v_and_b32_e32 v4, 0xffff0000, v4
	v_mul_f32_e32 v6, v10, v6
	s_delay_alu instid0(VALU_DEP_1) | instskip(SKIP_1) | instid1(VALU_DEP_2)
	v_bfe_u32 v13, v6, 16, 1
	v_cmp_o_f32_e32 vcc_lo, v6, v6
	v_add3_u32 v13, v6, v13, 0x7fff
	s_delay_alu instid0(VALU_DEP_1) | instskip(NEXT) | instid1(VALU_DEP_1)
	v_and_b32_e32 v13, 0xffff0000, v13
	v_cndmask_b32_e32 v6, 0x7fc00000, v13, vcc_lo
	s_delay_alu instid0(VALU_DEP_1) | instskip(NEXT) | instid1(VALU_DEP_1)
	v_mul_f32_e32 v4, v6, v4
	v_bfe_u32 v6, v4, 16, 1
	v_cmp_o_f32_e32 vcc_lo, v4, v4
	s_delay_alu instid0(VALU_DEP_2) | instskip(NEXT) | instid1(VALU_DEP_1)
	v_add3_u32 v6, v4, v6, 0x7fff
	v_and_b32_e32 v6, 0xffff0000, v6
	s_delay_alu instid0(VALU_DEP_1) | instskip(NEXT) | instid1(VALU_DEP_1)
	v_cndmask_b32_e32 v4, 0x7fc00000, v6, vcc_lo
	v_div_scale_f32 v6, null, v11, v11, v4
	v_div_scale_f32 v15, vcc_lo, v4, v11, v4
	s_delay_alu instid0(VALU_DEP_2) | instskip(SKIP_1) | instid1(TRANS32_DEP_1)
	v_rcp_f32_e32 v13, v6
	v_nop
	v_fma_f32 v14, -v6, v13, 1.0
	s_delay_alu instid0(VALU_DEP_1) | instskip(NEXT) | instid1(VALU_DEP_1)
	v_fmac_f32_e32 v13, v14, v13
	v_mul_f32_e32 v14, v15, v13
	s_delay_alu instid0(VALU_DEP_1) | instskip(NEXT) | instid1(VALU_DEP_1)
	v_fma_f32 v16, -v6, v14, v15
	v_fmac_f32_e32 v14, v16, v13
	s_delay_alu instid0(VALU_DEP_1) | instskip(NEXT) | instid1(VALU_DEP_1)
	v_fma_f32 v6, -v6, v14, v15
	v_div_fmas_f32 v6, v6, v13, v14
	v_mov_b32_e32 v13, 0x7f
	s_delay_alu instid0(VALU_DEP_2) | instskip(NEXT) | instid1(VALU_DEP_1)
	v_div_fixup_f32 v4, v6, v11, v4
	v_minmax_num_f32 v6, v4, s5, 0xc3e00000
	v_mov_b32_e32 v4, 0x7f
	s_delay_alu instid0(VALU_DEP_2) | instskip(NEXT) | instid1(VALU_DEP_1)
	v_and_b32_e32 v14, 0x7fffffff, v6
	v_cmpx_gt_u32_e32 0x43f00000, v14
	s_cbranch_execz .LBB15_172
; %bb.167:                              ;   in Loop: Header=BB15_79 Depth=1
	s_mov_b32 s12, exec_lo
                                        ; implicit-def: $vgpr13
	v_cmpx_lt_u32_e32 0x3c7fffff, v14
	s_xor_b32 s12, exec_lo, s12
; %bb.168:                              ;   in Loop: Header=BB15_79 Depth=1
	v_bfe_u32 v13, v6, 20, 1
	s_delay_alu instid0(VALU_DEP_1) | instskip(NEXT) | instid1(VALU_DEP_1)
	v_add3_u32 v13, v6, v13, 0x407ffff
	v_lshrrev_b32_e32 v13, 20, v13
; %bb.169:                              ;   in Loop: Header=BB15_79 Depth=1
	s_and_not1_saveexec_b32 s12, s12
; %bb.170:                              ;   in Loop: Header=BB15_79 Depth=1
	v_add_f32_e64 v13, 0x46800000, |v6|
; %bb.171:                              ;   in Loop: Header=BB15_79 Depth=1
	s_or_b32 exec_lo, exec_lo, s12
.LBB15_172:                             ;   in Loop: Header=BB15_79 Depth=1
	s_delay_alu instid0(SALU_CYCLE_1) | instskip(SKIP_3) | instid1(VALU_DEP_2)
	s_or_b32 exec_lo, exec_lo, s10
	v_and_b32_e32 v7, 0xffff0000, v7
	v_and_b32_e32 v5, 0xffff0000, v5
	s_mov_b32 s10, exec_lo
	v_mul_f32_e32 v7, v10, v7
	s_delay_alu instid0(VALU_DEP_1) | instskip(SKIP_1) | instid1(VALU_DEP_2)
	v_bfe_u32 v14, v7, 16, 1
	v_cmp_o_f32_e32 vcc_lo, v7, v7
	v_add3_u32 v14, v7, v14, 0x7fff
	s_delay_alu instid0(VALU_DEP_1) | instskip(NEXT) | instid1(VALU_DEP_1)
	v_and_b32_e32 v14, 0xffff0000, v14
	v_cndmask_b32_e32 v7, 0x7fc00000, v14, vcc_lo
	s_delay_alu instid0(VALU_DEP_1) | instskip(NEXT) | instid1(VALU_DEP_1)
	v_mul_f32_e32 v5, v7, v5
	v_bfe_u32 v7, v5, 16, 1
	v_cmp_o_f32_e32 vcc_lo, v5, v5
	s_delay_alu instid0(VALU_DEP_2) | instskip(NEXT) | instid1(VALU_DEP_1)
	v_add3_u32 v7, v5, v7, 0x7fff
	v_and_b32_e32 v7, 0xffff0000, v7
	s_delay_alu instid0(VALU_DEP_1) | instskip(NEXT) | instid1(VALU_DEP_1)
	v_cndmask_b32_e32 v5, 0x7fc00000, v7, vcc_lo
	v_div_scale_f32 v7, null, v11, v11, v5
	s_delay_alu instid0(VALU_DEP_1) | instskip(SKIP_1) | instid1(TRANS32_DEP_1)
	v_rcp_f32_e32 v14, v7
	v_nop
	v_fma_f32 v15, -v7, v14, 1.0
	s_delay_alu instid0(VALU_DEP_1) | instskip(SKIP_1) | instid1(VALU_DEP_1)
	v_fmac_f32_e32 v14, v15, v14
	v_div_scale_f32 v15, vcc_lo, v5, v11, v5
	v_mul_f32_e32 v16, v15, v14
	s_delay_alu instid0(VALU_DEP_1) | instskip(NEXT) | instid1(VALU_DEP_1)
	v_fma_f32 v17, -v7, v16, v15
	v_fmac_f32_e32 v16, v17, v14
	s_delay_alu instid0(VALU_DEP_1) | instskip(NEXT) | instid1(VALU_DEP_1)
	v_fma_f32 v7, -v7, v16, v15
	v_div_fmas_f32 v7, v7, v14, v16
	s_delay_alu instid0(VALU_DEP_1) | instskip(NEXT) | instid1(VALU_DEP_1)
	v_div_fixup_f32 v5, v7, v11, v5
	v_minmax_num_f32 v5, v5, s5, 0xc3e00000
	s_delay_alu instid0(VALU_DEP_1) | instskip(NEXT) | instid1(VALU_DEP_1)
	v_and_b32_e32 v7, 0x7fffffff, v5
	v_cmpx_gt_u32_e32 0x43f00000, v7
	s_cbranch_execz .LBB15_75
; %bb.173:                              ;   in Loop: Header=BB15_79 Depth=1
	s_mov_b32 s12, exec_lo
                                        ; implicit-def: $vgpr4
	v_cmpx_lt_u32_e32 0x3c7fffff, v7
	s_xor_b32 s12, exec_lo, s12
; %bb.174:                              ;   in Loop: Header=BB15_79 Depth=1
	v_bfe_u32 v4, v5, 20, 1
	s_delay_alu instid0(VALU_DEP_1) | instskip(NEXT) | instid1(VALU_DEP_1)
	v_add3_u32 v4, v5, v4, 0x407ffff
	v_lshrrev_b32_e32 v4, 20, v4
; %bb.175:                              ;   in Loop: Header=BB15_79 Depth=1
	s_and_not1_saveexec_b32 s12, s12
	s_cbranch_execz .LBB15_74
; %bb.176:                              ;   in Loop: Header=BB15_79 Depth=1
	v_add_f32_e64 v4, 0x46800000, |v5|
	s_branch .LBB15_74
.LBB15_177:
	s_endpgm
	.section	.rodata,"a",@progbits
	.p2align	6, 0x0
	.amdhsa_kernel _ZN4vllm39rms_norm_dynamic_per_token_quant_kernelIN3c108BFloat16ENS1_13Float8_e4m3fnELb0EEEvPT0_PfPKT_S9_PKffiPS7_
		.amdhsa_group_segment_fixed_size 272
		.amdhsa_private_segment_fixed_size 0
		.amdhsa_kernarg_size 312
		.amdhsa_user_sgpr_count 2
		.amdhsa_user_sgpr_dispatch_ptr 0
		.amdhsa_user_sgpr_queue_ptr 0
		.amdhsa_user_sgpr_kernarg_segment_ptr 1
		.amdhsa_user_sgpr_dispatch_id 0
		.amdhsa_user_sgpr_kernarg_preload_length 0
		.amdhsa_user_sgpr_kernarg_preload_offset 0
		.amdhsa_user_sgpr_private_segment_size 0
		.amdhsa_wavefront_size32 1
		.amdhsa_uses_dynamic_stack 0
		.amdhsa_enable_private_segment 0
		.amdhsa_system_sgpr_workgroup_id_x 1
		.amdhsa_system_sgpr_workgroup_id_y 0
		.amdhsa_system_sgpr_workgroup_id_z 0
		.amdhsa_system_sgpr_workgroup_info 0
		.amdhsa_system_vgpr_workitem_id 0
		.amdhsa_next_free_vgpr 24
		.amdhsa_next_free_sgpr 37
		.amdhsa_named_barrier_count 0
		.amdhsa_reserve_vcc 1
		.amdhsa_float_round_mode_32 0
		.amdhsa_float_round_mode_16_64 0
		.amdhsa_float_denorm_mode_32 3
		.amdhsa_float_denorm_mode_16_64 3
		.amdhsa_fp16_overflow 0
		.amdhsa_memory_ordered 1
		.amdhsa_forward_progress 1
		.amdhsa_inst_pref_size 113
		.amdhsa_round_robin_scheduling 0
		.amdhsa_exception_fp_ieee_invalid_op 0
		.amdhsa_exception_fp_denorm_src 0
		.amdhsa_exception_fp_ieee_div_zero 0
		.amdhsa_exception_fp_ieee_overflow 0
		.amdhsa_exception_fp_ieee_underflow 0
		.amdhsa_exception_fp_ieee_inexact 0
		.amdhsa_exception_int_div_zero 0
	.end_amdhsa_kernel
	.section	.text._ZN4vllm39rms_norm_dynamic_per_token_quant_kernelIN3c108BFloat16ENS1_13Float8_e4m3fnELb0EEEvPT0_PfPKT_S9_PKffiPS7_,"axG",@progbits,_ZN4vllm39rms_norm_dynamic_per_token_quant_kernelIN3c108BFloat16ENS1_13Float8_e4m3fnELb0EEEvPT0_PfPKT_S9_PKffiPS7_,comdat
.Lfunc_end15:
	.size	_ZN4vllm39rms_norm_dynamic_per_token_quant_kernelIN3c108BFloat16ENS1_13Float8_e4m3fnELb0EEEvPT0_PfPKT_S9_PKffiPS7_, .Lfunc_end15-_ZN4vllm39rms_norm_dynamic_per_token_quant_kernelIN3c108BFloat16ENS1_13Float8_e4m3fnELb0EEEvPT0_PfPKT_S9_PKffiPS7_
                                        ; -- End function
	.set _ZN4vllm39rms_norm_dynamic_per_token_quant_kernelIN3c108BFloat16ENS1_13Float8_e4m3fnELb0EEEvPT0_PfPKT_S9_PKffiPS7_.num_vgpr, 24
	.set _ZN4vllm39rms_norm_dynamic_per_token_quant_kernelIN3c108BFloat16ENS1_13Float8_e4m3fnELb0EEEvPT0_PfPKT_S9_PKffiPS7_.num_agpr, 0
	.set _ZN4vllm39rms_norm_dynamic_per_token_quant_kernelIN3c108BFloat16ENS1_13Float8_e4m3fnELb0EEEvPT0_PfPKT_S9_PKffiPS7_.numbered_sgpr, 37
	.set _ZN4vllm39rms_norm_dynamic_per_token_quant_kernelIN3c108BFloat16ENS1_13Float8_e4m3fnELb0EEEvPT0_PfPKT_S9_PKffiPS7_.num_named_barrier, 0
	.set _ZN4vllm39rms_norm_dynamic_per_token_quant_kernelIN3c108BFloat16ENS1_13Float8_e4m3fnELb0EEEvPT0_PfPKT_S9_PKffiPS7_.private_seg_size, 0
	.set _ZN4vllm39rms_norm_dynamic_per_token_quant_kernelIN3c108BFloat16ENS1_13Float8_e4m3fnELb0EEEvPT0_PfPKT_S9_PKffiPS7_.uses_vcc, 1
	.set _ZN4vllm39rms_norm_dynamic_per_token_quant_kernelIN3c108BFloat16ENS1_13Float8_e4m3fnELb0EEEvPT0_PfPKT_S9_PKffiPS7_.uses_flat_scratch, 0
	.set _ZN4vllm39rms_norm_dynamic_per_token_quant_kernelIN3c108BFloat16ENS1_13Float8_e4m3fnELb0EEEvPT0_PfPKT_S9_PKffiPS7_.has_dyn_sized_stack, 0
	.set _ZN4vllm39rms_norm_dynamic_per_token_quant_kernelIN3c108BFloat16ENS1_13Float8_e4m3fnELb0EEEvPT0_PfPKT_S9_PKffiPS7_.has_recursion, 0
	.set _ZN4vllm39rms_norm_dynamic_per_token_quant_kernelIN3c108BFloat16ENS1_13Float8_e4m3fnELb0EEEvPT0_PfPKT_S9_PKffiPS7_.has_indirect_call, 0
	.section	.AMDGPU.csdata,"",@progbits
; Kernel info:
; codeLenInByte = 14360
; TotalNumSgprs: 39
; NumVgprs: 24
; ScratchSize: 0
; MemoryBound: 0
; FloatMode: 240
; IeeeMode: 1
; LDSByteSize: 272 bytes/workgroup (compile time only)
; SGPRBlocks: 0
; VGPRBlocks: 1
; NumSGPRsForWavesPerEU: 39
; NumVGPRsForWavesPerEU: 24
; NamedBarCnt: 0
; Occupancy: 16
; WaveLimiterHint : 0
; COMPUTE_PGM_RSRC2:SCRATCH_EN: 0
; COMPUTE_PGM_RSRC2:USER_SGPR: 2
; COMPUTE_PGM_RSRC2:TRAP_HANDLER: 0
; COMPUTE_PGM_RSRC2:TGID_X_EN: 1
; COMPUTE_PGM_RSRC2:TGID_Y_EN: 0
; COMPUTE_PGM_RSRC2:TGID_Z_EN: 0
; COMPUTE_PGM_RSRC2:TIDIG_COMP_CNT: 0
	.section	.text._ZN4vllm39rms_norm_dynamic_per_token_quant_kernelIN3c108BFloat16ENS1_15Float8_e4m3fnuzELb0EEEvPT0_PfPKT_S9_PKffiPS7_,"axG",@progbits,_ZN4vllm39rms_norm_dynamic_per_token_quant_kernelIN3c108BFloat16ENS1_15Float8_e4m3fnuzELb0EEEvPT0_PfPKT_S9_PKffiPS7_,comdat
	.protected	_ZN4vllm39rms_norm_dynamic_per_token_quant_kernelIN3c108BFloat16ENS1_15Float8_e4m3fnuzELb0EEEvPT0_PfPKT_S9_PKffiPS7_ ; -- Begin function _ZN4vllm39rms_norm_dynamic_per_token_quant_kernelIN3c108BFloat16ENS1_15Float8_e4m3fnuzELb0EEEvPT0_PfPKT_S9_PKffiPS7_
	.globl	_ZN4vllm39rms_norm_dynamic_per_token_quant_kernelIN3c108BFloat16ENS1_15Float8_e4m3fnuzELb0EEEvPT0_PfPKT_S9_PKffiPS7_
	.p2align	8
	.type	_ZN4vllm39rms_norm_dynamic_per_token_quant_kernelIN3c108BFloat16ENS1_15Float8_e4m3fnuzELb0EEEvPT0_PfPKT_S9_PKffiPS7_,@function
_ZN4vllm39rms_norm_dynamic_per_token_quant_kernelIN3c108BFloat16ENS1_15Float8_e4m3fnuzELb0EEEvPT0_PfPKT_S9_PKffiPS7_: ; @_ZN4vllm39rms_norm_dynamic_per_token_quant_kernelIN3c108BFloat16ENS1_15Float8_e4m3fnuzELb0EEEvPT0_PfPKT_S9_PKffiPS7_
; %bb.0:
	s_clause 0x1
	s_load_b128 s[20:23], s[0:1], 0x20
	s_load_b256 s[12:19], s[0:1], 0x0
	s_getreg_b32 s26, hwreg(HW_REG_IB_STS2, 6, 4)
	s_wait_kmcnt 0x0
	s_and_b32 s2, s23, 3
	s_delay_alu instid0(SALU_CYCLE_1)
	s_cmp_lg_u32 s2, 0
	s_cbranch_scc0 .LBB16_39
; %bb.1:
	s_bfe_u32 s2, ttmp6, 0x4000c
	s_and_b32 s3, ttmp6, 15
	s_add_co_i32 s2, s2, 1
	v_cmp_le_u32_e64 s5, s23, v0
	s_mul_i32 s4, ttmp9, s2
	v_cmp_gt_u32_e64 s2, s23, v0
	s_add_co_i32 s3, s3, s4
	s_cmp_eq_u32 s26, 0
                                        ; implicit-def: $sgpr6_sgpr7
	s_cselect_b32 s24, ttmp9, s3
	s_and_saveexec_b32 s3, s5
	s_delay_alu instid0(SALU_CYCLE_1)
	s_xor_b32 s3, exec_lo, s3
; %bb.2:
	s_add_nc_u64 s[6:7], s[0:1], 56
; %bb.3:
	s_or_saveexec_b32 s3, s3
	v_mov_b64_e32 v[2:3], s[6:7]
	v_mov_b32_e32 v5, 0
	s_xor_b32 exec_lo, exec_lo, s3
	s_cbranch_execz .LBB16_7
; %bb.4:
	s_load_b32 s4, s[0:1], 0x44
	s_ashr_i32 s7, s23, 31
	s_mov_b32 s6, s23
	s_mov_b32 s25, 0
	v_dual_mov_b32 v5, 0 :: v_dual_mov_b32 v1, v0
	s_mul_u64 s[6:7], s[6:7], s[24:25]
	s_delay_alu instid0(SALU_CYCLE_1) | instskip(NEXT) | instid1(SALU_CYCLE_1)
	s_lshl_b64 s[6:7], s[6:7], 1
	s_add_nc_u64 s[8:9], s[16:17], s[6:7]
	s_add_nc_u64 s[6:7], s[0:1], 56
	s_wait_kmcnt 0x0
	s_and_b32 s4, s4, 0xffff
.LBB16_5:                               ; =>This Inner Loop Header: Depth=1
	global_load_u16 v2, v1, s[8:9] scale_offset
	s_wait_xcnt 0x0
	v_add_nc_u32_e32 v1, s4, v1
	s_delay_alu instid0(VALU_DEP_1)
	v_cmp_le_u32_e32 vcc_lo, s23, v1
	s_or_b32 s25, vcc_lo, s25
	s_wait_loadcnt 0x0
	v_fma_mix_f32_bf16 v5, v2, v2, v5 op_sel_hi:[1,1,0]
	s_and_not1_b32 exec_lo, exec_lo, s25
	s_cbranch_execnz .LBB16_5
; %bb.6:
	s_or_b32 exec_lo, exec_lo, s25
	v_mov_b64_e32 v[2:3], s[6:7]
.LBB16_7:
	s_or_b32 exec_lo, exec_lo, s3
	global_load_b32 v1, v[2:3], off
	v_mov_b32_e32 v7, 0
	v_mbcnt_lo_u32_b32 v4, -1, 0
	v_and_b32_e32 v10, 0x3c0, v0
	s_delay_alu instid0(VALU_DEP_2)
	v_cmp_eq_u32_e64 s3, 0, v4
	v_dual_add_nc_u32 v13, 2, v4 :: v_dual_add_nc_u32 v15, 4, v4
	v_dual_add_nc_u32 v18, 8, v4 :: v_dual_add_nc_u32 v17, 16, v4
	v_or_b32_e32 v19, 32, v4
	s_wait_loadcnt 0x0
	v_cmp_lt_u32_e32 vcc_lo, s24, v1
	v_cndmask_b32_e64 v6, 18, 12, vcc_lo
	v_cmp_ne_u32_e32 vcc_lo, 63, v4
	s_delay_alu instid0(VALU_DEP_2)
	v_add_nc_u64_e32 v[2:3], v[2:3], v[6:7]
	v_lshlrev_b32_e32 v7, 2, v4
	global_load_u16 v1, v[2:3], off
	s_wait_xcnt 0x0
	v_add_co_ci_u32_e64 v2, null, 0, v4, vcc_lo
	v_cmp_gt_u32_e32 vcc_lo, 62, v4
	s_delay_alu instid0(VALU_DEP_2)
	v_lshlrev_b32_e32 v9, 2, v2
	v_cndmask_b32_e64 v3, 0, 2, vcc_lo
	ds_bpermute_b32 v2, v9, v5
	v_add_nc_u32_e32 v8, 1, v4
	v_add_lshl_u32 v11, v3, v4, 2
	s_wait_dscnt 0x0
	v_add_f32_e32 v2, v5, v2
	s_wait_loadcnt 0x0
	v_sub_nc_u32_e64 v6, v1, v10 clamp
	s_delay_alu instid0(VALU_DEP_1) | instskip(NEXT) | instid1(VALU_DEP_3)
	v_cmp_lt_u32_e32 vcc_lo, v8, v6
	v_cndmask_b32_e32 v2, v5, v2, vcc_lo
	v_cmp_gt_u32_e32 vcc_lo, 60, v4
	ds_bpermute_b32 v3, v11, v2
	v_cndmask_b32_e64 v5, 0, 4, vcc_lo
	v_cmp_lt_u32_e32 vcc_lo, v13, v6
	s_delay_alu instid0(VALU_DEP_2) | instskip(SKIP_2) | instid1(VALU_DEP_1)
	v_add_lshl_u32 v12, v5, v4, 2
	s_wait_dscnt 0x0
	v_add_f32_e32 v3, v2, v3
	v_cndmask_b32_e32 v2, v2, v3, vcc_lo
	v_cmp_gt_u32_e32 vcc_lo, 56, v4
	ds_bpermute_b32 v3, v12, v2
	v_cndmask_b32_e64 v5, 0, 8, vcc_lo
	v_cmp_lt_u32_e32 vcc_lo, v15, v6
	s_delay_alu instid0(VALU_DEP_2) | instskip(SKIP_2) | instid1(VALU_DEP_1)
	v_add_lshl_u32 v14, v5, v4, 2
	s_wait_dscnt 0x0
	v_add_f32_e32 v3, v2, v3
	v_cndmask_b32_e32 v2, v2, v3, vcc_lo
	v_cmp_gt_u32_e32 vcc_lo, 48, v4
	ds_bpermute_b32 v3, v14, v2
	v_cndmask_b32_e64 v5, 0, 16, vcc_lo
	v_cmp_lt_u32_e32 vcc_lo, v18, v6
	s_delay_alu instid0(VALU_DEP_2) | instskip(SKIP_2) | instid1(VALU_DEP_1)
	v_add_lshl_u32 v16, v5, v4, 2
	s_wait_dscnt 0x0
	v_add_f32_e32 v3, v2, v3
	v_cndmask_b32_e32 v2, v2, v3, vcc_lo
	v_cmp_lt_u32_e32 vcc_lo, v17, v6
	ds_bpermute_b32 v3, v16, v2
	s_wait_dscnt 0x0
	v_add_f32_e32 v3, v2, v3
	s_delay_alu instid0(VALU_DEP_1) | instskip(SKIP_4) | instid1(VALU_DEP_1)
	v_cndmask_b32_e32 v2, v2, v3, vcc_lo
	v_cmp_lt_u32_e32 vcc_lo, v19, v6
	ds_bpermute_b32 v3, v7, v2 offset:128
	s_wait_dscnt 0x0
	v_add_f32_e32 v3, v2, v3
	v_cndmask_b32_e32 v2, v2, v3, vcc_lo
	s_and_saveexec_b32 s4, s3
; %bb.8:
	v_lshrrev_b32_e32 v3, 4, v0
	s_delay_alu instid0(VALU_DEP_1)
	v_and_b32_e32 v3, 60, v3
	ds_store_b32 v3, v2 offset:128
; %bb.9:
	s_or_b32 exec_lo, exec_lo, s4
	v_cmp_gt_u32_e64 s4, 16, v0
	v_and_b32_e32 v5, 15, v4
	v_or_b32_e32 v6, 32, v7
	s_wait_dscnt 0x0
	s_barrier_signal -1
	s_barrier_wait -1
	s_and_saveexec_b32 s7, s4
	s_cbranch_execz .LBB16_11
; %bb.10:
	ds_load_b32 v2, v7 offset:128
	v_cmp_ne_u32_e32 vcc_lo, 15, v5
	v_cmp_gt_u32_e64 s6, 12, v5
	v_add_nc_u32_e32 v1, 63, v1
	v_add_co_ci_u32_e64 v3, null, 0, v4, vcc_lo
	v_cmp_gt_u32_e32 vcc_lo, 14, v5
	s_delay_alu instid0(VALU_DEP_4) | instskip(NEXT) | instid1(VALU_DEP_3)
	v_cndmask_b32_e64 v22, 0, 4, s6
	v_lshlrev_b32_e32 v3, 2, v3
	v_cndmask_b32_e64 v21, 0, 2, vcc_lo
	s_delay_alu instid0(VALU_DEP_1)
	v_add_lshl_u32 v21, v21, v4, 2
	s_wait_dscnt 0x0
	ds_bpermute_b32 v3, v3, v2
	s_wait_dscnt 0x0
	v_dual_add_f32 v3, v2, v3 :: v_dual_add_nc_u32 v20, 1, v5
	v_lshrrev_b32_e32 v1, 6, v1
	s_delay_alu instid0(VALU_DEP_1) | instskip(NEXT) | instid1(VALU_DEP_3)
	v_cmp_lt_u32_e32 vcc_lo, v20, v1
	v_cndmask_b32_e32 v3, v2, v3, vcc_lo
	ds_bpermute_b32 v20, v21, v3
	s_wait_dscnt 0x0
	v_dual_add_f32 v20, v3, v20 :: v_dual_add_nc_u32 v21, 2, v5
	s_delay_alu instid0(VALU_DEP_1) | instskip(NEXT) | instid1(VALU_DEP_1)
	v_cmp_lt_u32_e64 s6, v21, v1
	v_dual_add_nc_u32 v21, 4, v5 :: v_dual_cndmask_b32 v3, v3, v20, s6
	v_add_lshl_u32 v20, v22, v4, 2
	s_delay_alu instid0(VALU_DEP_2) | instskip(SKIP_4) | instid1(VALU_DEP_1)
	v_cmp_lt_u32_e64 s6, v21, v1
	v_add_nc_u32_e32 v21, 8, v5
	ds_bpermute_b32 v20, v20, v3
	s_wait_dscnt 0x0
	v_add_f32_e32 v20, v3, v20
	v_cndmask_b32_e64 v3, v3, v20, s6
	v_cmp_lt_u32_e64 s6, v21, v1
	ds_bpermute_b32 v20, v6, v3
	s_wait_dscnt 0x0
	v_add_f32_e32 v20, v3, v20
	s_delay_alu instid0(VALU_DEP_1) | instskip(NEXT) | instid1(VALU_DEP_1)
	v_cndmask_b32_e64 v1, v3, v20, s6
	v_cndmask_b32_e32 v2, v2, v1, vcc_lo
.LBB16_11:
	s_or_b32 exec_lo, exec_lo, s7
	v_cmp_eq_u32_e64 s6, 0, v0
	s_mov_b32 s25, 0
	s_and_saveexec_b32 s7, s6
	s_cbranch_execz .LBB16_13
; %bb.12:
	s_cvt_f32_i32 s8, s23
	s_delay_alu instid0(SALU_CYCLE_3) | instskip(SKIP_1) | instid1(VALU_DEP_2)
	v_div_scale_f32 v1, null, s8, s8, v2
	v_div_scale_f32 v21, vcc_lo, v2, s8, v2
	v_rcp_f32_e32 v3, v1
	v_nop
	s_delay_alu instid0(TRANS32_DEP_1) | instskip(NEXT) | instid1(VALU_DEP_1)
	v_fma_f32 v20, -v1, v3, 1.0
	v_fmac_f32_e32 v3, v20, v3
	s_delay_alu instid0(VALU_DEP_1) | instskip(NEXT) | instid1(VALU_DEP_1)
	v_mul_f32_e32 v20, v21, v3
	v_fma_f32 v22, -v1, v20, v21
	s_delay_alu instid0(VALU_DEP_1) | instskip(NEXT) | instid1(VALU_DEP_1)
	v_fmac_f32_e32 v20, v22, v3
	v_fma_f32 v1, -v1, v20, v21
	s_delay_alu instid0(VALU_DEP_1) | instskip(NEXT) | instid1(VALU_DEP_1)
	v_div_fmas_f32 v1, v1, v3, v20
	v_div_fixup_f32 v1, v1, s8, v2
	s_delay_alu instid0(VALU_DEP_1) | instskip(NEXT) | instid1(VALU_DEP_1)
	v_add_f32_e32 v1, s22, v1
	v_mul_f32_e32 v2, 0x4b800000, v1
	v_cmp_gt_f32_e32 vcc_lo, 0x800000, v1
	s_delay_alu instid0(VALU_DEP_2) | instskip(NEXT) | instid1(VALU_DEP_1)
	v_cndmask_b32_e32 v1, v1, v2, vcc_lo
	v_rsq_f32_e32 v1, v1
	v_nop
	s_delay_alu instid0(TRANS32_DEP_1) | instskip(NEXT) | instid1(VALU_DEP_1)
	v_mul_f32_e32 v2, 0x45800000, v1
	v_dual_cndmask_b32 v1, v1, v2 :: v_dual_mov_b32 v2, 0
	ds_store_b32 v2, v1 offset:264
.LBB16_13:
	s_or_b32 exec_lo, exec_lo, s7
	v_mov_b32_e32 v20, 0
	s_wait_dscnt 0x0
	s_barrier_signal -1
	s_barrier_wait -1
	ds_load_b32 v1, v20 offset:264
                                        ; implicit-def: $sgpr8_sgpr9
	s_and_saveexec_b32 s7, s5
	s_delay_alu instid0(SALU_CYCLE_1)
	s_xor_b32 s5, exec_lo, s7
; %bb.14:
	s_add_nc_u64 s[8:9], s[0:1], 56
; %bb.15:
	s_or_saveexec_b32 s7, s5
	v_mov_b64_e32 v[2:3], s[8:9]
	s_xor_b32 exec_lo, exec_lo, s7
	s_cbranch_execz .LBB16_19
; %bb.16:
	s_load_b32 s5, s[0:1], 0x44
	s_ashr_i32 s11, s23, 31
	s_mov_b32 s10, s23
	v_dual_mov_b32 v20, 0 :: v_dual_mov_b32 v2, v0
	s_mul_u64 s[10:11], s[10:11], s[24:25]
	s_add_nc_u64 s[8:9], s[0:1], 56
	s_lshl_b64 s[10:11], s[10:11], 1
	s_mov_b32 s27, 0
	s_add_nc_u64 s[10:11], s[16:17], s[10:11]
	s_wait_kmcnt 0x0
	s_and_b32 s28, s5, 0xffff
.LBB16_17:                              ; =>This Inner Loop Header: Depth=1
	s_clause 0x1
	global_load_u16 v3, v2, s[10:11] scale_offset
	global_load_u16 v21, v2, s[18:19] scale_offset
	s_wait_loadcnt 0x1
	s_wait_xcnt 0x0
	v_dual_add_nc_u32 v2, s28, v2 :: v_dual_lshlrev_b32 v3, 16, v3
	s_wait_loadcnt_dscnt 0x0
	s_delay_alu instid0(VALU_DEP_1) | instskip(NEXT) | instid1(VALU_DEP_1)
	v_dual_lshlrev_b32 v21, 16, v21 :: v_dual_mul_f32 v3, v1, v3
	v_bfe_u32 v22, v3, 16, 1
	v_cmp_o_f32_e32 vcc_lo, v3, v3
	s_delay_alu instid0(VALU_DEP_2) | instskip(NEXT) | instid1(VALU_DEP_1)
	v_add3_u32 v22, v3, v22, 0x7fff
	v_and_b32_e32 v22, 0xffff0000, v22
	s_delay_alu instid0(VALU_DEP_1) | instskip(SKIP_1) | instid1(VALU_DEP_2)
	v_dual_cndmask_b32 v3, 0x7fc00000, v22 :: v_dual_max_num_f32 v22, v20, v20
	v_cmp_le_u32_e32 vcc_lo, s23, v2
	v_mul_f32_e32 v3, v3, v21
	s_or_b32 s27, vcc_lo, s27
	s_delay_alu instid0(VALU_DEP_1) | instskip(SKIP_1) | instid1(VALU_DEP_2)
	v_bfe_u32 v21, v3, 16, 1
	v_cmp_u_f32_e64 s5, v3, v3
	v_add3_u32 v21, v3, v21, 0x7fff
	s_delay_alu instid0(VALU_DEP_1) | instskip(NEXT) | instid1(VALU_DEP_1)
	v_and_b32_e32 v21, 0xffff0000, v21
	v_max_num_f32_e64 v21, |v21|, |v21|
	s_delay_alu instid0(VALU_DEP_1) | instskip(NEXT) | instid1(VALU_DEP_1)
	v_max_num_f32_e32 v21, v22, v21
	v_cndmask_b32_e64 v20, v21, v20, s5
	s_and_not1_b32 exec_lo, exec_lo, s27
	s_cbranch_execnz .LBB16_17
; %bb.18:
	s_or_b32 exec_lo, exec_lo, s27
	v_mov_b64_e32 v[2:3], s[8:9]
.LBB16_19:
	s_or_b32 exec_lo, exec_lo, s7
	global_load_b32 v22, v[2:3], off
	v_mov_b32_e32 v23, 0
	v_or_b32_e32 v21, 0x80, v7
	s_wait_loadcnt 0x0
	v_cmp_lt_u32_e32 vcc_lo, s24, v22
	v_cndmask_b32_e64 v22, 18, 12, vcc_lo
	s_delay_alu instid0(VALU_DEP_1)
	v_add_nc_u64_e32 v[2:3], v[2:3], v[22:23]
	global_load_u16 v2, v[2:3], off
	s_wait_xcnt 0x0
	ds_bpermute_b32 v3, v9, v20
	s_wait_dscnt 0x0
	v_cmp_lt_f32_e32 vcc_lo, v20, v3
	v_cndmask_b32_e32 v3, v20, v3, vcc_lo
	s_wait_loadcnt 0x0
	v_sub_nc_u32_e64 v9, v2, v10 clamp
	s_delay_alu instid0(VALU_DEP_1)
	v_cmp_lt_u32_e32 vcc_lo, v8, v9
	v_cmp_lt_u32_e64 s10, v19, v9
	v_cndmask_b32_e32 v3, v20, v3, vcc_lo
	ds_bpermute_b32 v8, v11, v3
	s_wait_dscnt 0x0
	v_cmp_lt_f32_e64 s5, v3, v8
	s_delay_alu instid0(VALU_DEP_1) | instskip(SKIP_1) | instid1(VALU_DEP_1)
	v_cndmask_b32_e64 v8, v3, v8, s5
	v_cmp_lt_u32_e64 s5, v13, v9
	v_cndmask_b32_e64 v3, v3, v8, s5
	s_or_b32 s5, vcc_lo, s5
	ds_bpermute_b32 v8, v12, v3
	s_wait_dscnt 0x0
	v_cmp_lt_f32_e64 s7, v3, v8
	s_delay_alu instid0(VALU_DEP_1) | instskip(SKIP_1) | instid1(VALU_DEP_1)
	v_cndmask_b32_e64 v8, v3, v8, s7
	v_cmp_lt_u32_e64 s7, v15, v9
	v_cndmask_b32_e64 v3, v3, v8, s7
	s_or_b32 s5, s7, s5
	ds_bpermute_b32 v8, v14, v3
	s_wait_dscnt 0x0
	v_cmp_lt_f32_e64 s8, v3, v8
	s_delay_alu instid0(VALU_DEP_1) | instskip(SKIP_1) | instid1(VALU_DEP_1)
	v_cndmask_b32_e64 v8, v3, v8, s8
	v_cmp_lt_u32_e64 s8, v18, v9
	v_cndmask_b32_e64 v3, v3, v8, s8
	s_or_b32 s5, s8, s5
	;; [unrolled: 8-line block ×3, first 2 shown]
	ds_bpermute_b32 v8, v21, v3
	s_wait_dscnt 0x0
	v_cmp_lt_f32_e32 vcc_lo, v3, v8
	s_and_b32 vcc_lo, s10, vcc_lo
	v_cndmask_b32_e32 v3, v3, v8, vcc_lo
	s_or_b32 vcc_lo, s10, s5
	s_delay_alu instid0(VALU_DEP_1)
	v_cndmask_b32_e32 v3, v20, v3, vcc_lo
	s_and_saveexec_b32 s5, s3
; %bb.20:
	v_lshrrev_b32_e32 v8, 4, v0
	s_delay_alu instid0(VALU_DEP_1)
	v_and_b32_e32 v8, 60, v8
	ds_store_b32 v8, v3 offset:192
; %bb.21:
	s_or_b32 exec_lo, exec_lo, s5
	s_wait_dscnt 0x0
	s_barrier_signal -1
	s_barrier_wait -1
	s_and_saveexec_b32 s5, s4
	s_cbranch_execz .LBB16_23
; %bb.22:
	ds_load_b32 v3, v7 offset:192
	v_cmp_ne_u32_e32 vcc_lo, 15, v5
	v_cmp_gt_u32_e64 s3, 12, v5
	v_dual_add_nc_u32 v2, 63, v2 :: v_dual_add_nc_u32 v8, 1, v5
	v_add_co_ci_u32_e64 v7, null, 0, v4, vcc_lo
	v_cmp_gt_u32_e32 vcc_lo, 14, v5
	s_delay_alu instid0(VALU_DEP_4) | instskip(NEXT) | instid1(VALU_DEP_3)
	v_cndmask_b32_e64 v10, 0, 4, s3
	v_dual_lshrrev_b32 v2, 6, v2 :: v_dual_lshlrev_b32 v7, 2, v7
	v_cndmask_b32_e64 v9, 0, 2, vcc_lo
	s_delay_alu instid0(VALU_DEP_1) | instskip(NEXT) | instid1(VALU_DEP_4)
	v_add_lshl_u32 v9, v9, v4, 2
	v_add_lshl_u32 v4, v10, v4, 2
	s_wait_dscnt 0x0
	ds_bpermute_b32 v7, v7, v3
	s_wait_dscnt 0x0
	v_cmp_lt_f32_e32 vcc_lo, v3, v7
	v_cndmask_b32_e32 v7, v3, v7, vcc_lo
	v_cmp_lt_u32_e32 vcc_lo, v8, v2
	s_delay_alu instid0(VALU_DEP_2) | instskip(SKIP_4) | instid1(VALU_DEP_1)
	v_cndmask_b32_e32 v7, v3, v7, vcc_lo
	ds_bpermute_b32 v8, v9, v7
	v_add_nc_u32_e32 v9, 2, v5
	s_wait_dscnt 0x0
	v_cmp_lt_f32_e64 s3, v7, v8
	v_cndmask_b32_e64 v8, v7, v8, s3
	s_delay_alu instid0(VALU_DEP_3) | instskip(NEXT) | instid1(VALU_DEP_1)
	v_cmp_lt_u32_e64 s3, v9, v2
	v_dual_cndmask_b32 v7, v7, v8, s3 :: v_dual_add_nc_u32 v8, 4, v5
	v_add_nc_u32_e32 v5, 8, v5
	ds_bpermute_b32 v4, v4, v7
	s_wait_dscnt 0x0
	v_cmp_lt_f32_e64 s3, v7, v4
	s_delay_alu instid0(VALU_DEP_1) | instskip(SKIP_1) | instid1(VALU_DEP_1)
	v_cndmask_b32_e64 v4, v7, v4, s3
	v_cmp_lt_u32_e64 s3, v8, v2
	v_cndmask_b32_e64 v4, v7, v4, s3
	v_cmp_lt_u32_e64 s3, v5, v2
	ds_bpermute_b32 v6, v6, v4
	s_wait_dscnt 0x0
	v_cmp_lt_f32_e64 s4, v4, v6
	s_and_b32 s3, s3, s4
	s_delay_alu instid0(SALU_CYCLE_1) | instskip(NEXT) | instid1(VALU_DEP_1)
	v_cndmask_b32_e64 v2, v4, v6, s3
	v_cndmask_b32_e32 v3, v3, v2, vcc_lo
.LBB16_23:
	s_or_b32 exec_lo, exec_lo, s5
	s_and_saveexec_b32 s3, s6
	s_cbranch_execz .LBB16_27
; %bb.24:
	s_cmp_eq_u64 s[20:21], 0
	s_cbranch_scc1 .LBB16_26
; %bb.25:
	s_load_b32 s4, s[20:21], 0x0
	v_max_num_f32_e32 v2, v3, v3
	s_wait_kmcnt 0x0
	v_max_num_f32_e64 v3, s4, s4
	s_delay_alu instid0(VALU_DEP_1)
	v_min_num_f32_e32 v3, v2, v3
.LBB16_26:
	s_delay_alu instid0(VALU_DEP_1)
	v_div_scale_f32 v2, null, 0x43600000, 0x43600000, v3
	v_div_scale_f32 v6, vcc_lo, v3, 0x43600000, v3
	s_lshl_b64 s[4:5], s[24:25], 2
	v_rcp_f32_e32 v4, v2
	s_add_nc_u64 s[4:5], s[14:15], s[4:5]
	v_nop
	s_delay_alu instid0(TRANS32_DEP_1) | instskip(NEXT) | instid1(VALU_DEP_1)
	v_fma_f32 v5, -v2, v4, 1.0
	v_fmac_f32_e32 v4, v5, v4
	s_delay_alu instid0(VALU_DEP_1) | instskip(NEXT) | instid1(VALU_DEP_1)
	v_mul_f32_e32 v5, v6, v4
	v_fma_f32 v7, -v2, v5, v6
	s_delay_alu instid0(VALU_DEP_1) | instskip(NEXT) | instid1(VALU_DEP_1)
	v_fmac_f32_e32 v5, v7, v4
	v_fma_f32 v2, -v2, v5, v6
	s_delay_alu instid0(VALU_DEP_1) | instskip(NEXT) | instid1(VALU_DEP_1)
	v_div_fmas_f32 v2, v2, v4, v5
	v_div_fixup_f32 v2, v2, 0x43600000, v3
	s_delay_alu instid0(VALU_DEP_1)
	v_dual_mov_b32 v3, 0 :: v_dual_max_num_f32 v2, 0x37124925, v2
	ds_store_b32 v3, v2 offset:268
	global_store_b32 v3, v2, s[4:5]
.LBB16_27:
	s_wait_xcnt 0x0
	s_or_b32 exec_lo, exec_lo, s3
	s_wait_storecnt_dscnt 0x0
	s_barrier_signal -1
	s_barrier_wait -1
	s_and_saveexec_b32 s4, s2
	s_cbranch_execz .LBB16_38
; %bb.28:
	v_dual_mov_b32 v3, 0 :: v_dual_mov_b32 v2, v0
	s_load_b32 s5, s[0:1], 0x44
	s_ashr_i32 s3, s23, 31
	s_mov_b32 s2, s23
	ds_load_b32 v6, v3 offset:268
	s_mul_u64 s[2:3], s[2:3], s[24:25]
	s_mov_b32 s6, 0
	s_mov_b32 s7, 0x43600000
	s_wait_kmcnt 0x0
	s_and_b32 s5, s5, 0xffff
	s_branch .LBB16_31
.LBB16_29:                              ;   in Loop: Header=BB16_31 Depth=1
	s_or_b32 exec_lo, exec_lo, s10
.LBB16_30:                              ;   in Loop: Header=BB16_31 Depth=1
	s_delay_alu instid0(SALU_CYCLE_1) | instskip(SKIP_2) | instid1(VALU_DEP_2)
	s_or_b32 exec_lo, exec_lo, s8
	v_add_nc_u32_e32 v2, s5, v2
	v_add_nc_u64_e32 v[4:5], s[12:13], v[4:5]
	v_cmp_le_u32_e32 vcc_lo, s23, v2
	global_store_b8 v[4:5], v9, off
	s_or_b32 s6, vcc_lo, s6
	s_wait_xcnt 0x0
	s_and_not1_b32 exec_lo, exec_lo, s6
	s_cbranch_execz .LBB16_38
.LBB16_31:                              ; =>This Inner Loop Header: Depth=1
	v_add_nc_u64_e32 v[4:5], s[2:3], v[2:3]
	s_mov_b32 s8, exec_lo
	s_delay_alu instid0(VALU_DEP_1)
	v_lshl_add_u64 v[8:9], v[4:5], 1, s[16:17]
	global_load_u16 v7, v[8:9], off
	global_load_u16 v10, v2, s[18:19] scale_offset
	s_wait_loadcnt 0x0
	s_wait_xcnt 0x1
	v_dual_lshlrev_b32 v7, 16, v7 :: v_dual_lshlrev_b32 v9, 16, v10
	s_delay_alu instid0(VALU_DEP_1) | instskip(NEXT) | instid1(VALU_DEP_1)
	v_mul_f32_e32 v7, v1, v7
	v_bfe_u32 v8, v7, 16, 1
	v_cmp_o_f32_e32 vcc_lo, v7, v7
	s_delay_alu instid0(VALU_DEP_2) | instskip(NEXT) | instid1(VALU_DEP_1)
	v_add3_u32 v8, v7, v8, 0x7fff
	v_and_b32_e32 v8, 0xffff0000, v8
	s_delay_alu instid0(VALU_DEP_1) | instskip(NEXT) | instid1(VALU_DEP_1)
	v_cndmask_b32_e32 v7, 0x7fc00000, v8, vcc_lo
	v_mul_f32_e32 v7, v7, v9
	s_delay_alu instid0(VALU_DEP_1) | instskip(SKIP_1) | instid1(VALU_DEP_2)
	v_bfe_u32 v8, v7, 16, 1
	v_cmp_o_f32_e32 vcc_lo, v7, v7
	v_add3_u32 v8, v7, v8, 0x7fff
	s_delay_alu instid0(VALU_DEP_1) | instskip(NEXT) | instid1(VALU_DEP_1)
	v_and_b32_e32 v8, 0xffff0000, v8
	v_cndmask_b32_e32 v7, 0x7fc00000, v8, vcc_lo
	s_wait_dscnt 0x0
	s_delay_alu instid0(VALU_DEP_1) | instskip(SKIP_1) | instid1(VALU_DEP_2)
	v_div_scale_f32 v8, null, v6, v6, v7
	v_div_scale_f32 v11, vcc_lo, v7, v6, v7
	v_rcp_f32_e32 v9, v8
	v_nop
	s_delay_alu instid0(TRANS32_DEP_1) | instskip(NEXT) | instid1(VALU_DEP_1)
	v_fma_f32 v10, -v8, v9, 1.0
	v_fmac_f32_e32 v9, v10, v9
	s_delay_alu instid0(VALU_DEP_1) | instskip(NEXT) | instid1(VALU_DEP_1)
	v_mul_f32_e32 v10, v11, v9
	v_fma_f32 v12, -v8, v10, v11
	s_delay_alu instid0(VALU_DEP_1) | instskip(NEXT) | instid1(VALU_DEP_1)
	v_fmac_f32_e32 v10, v12, v9
	v_fma_f32 v8, -v8, v10, v11
	s_delay_alu instid0(VALU_DEP_1) | instskip(SKIP_1) | instid1(VALU_DEP_2)
	v_div_fmas_f32 v8, v8, v9, v10
	v_mov_b32_e32 v9, 0x80
	v_div_fixup_f32 v7, v8, v6, v7
	s_delay_alu instid0(VALU_DEP_1) | instskip(NEXT) | instid1(VALU_DEP_1)
	v_minmax_num_f32 v7, v7, s7, 0xc3600000
	v_and_b32_e32 v8, 0x7fffffff, v7
	s_wait_xcnt 0x0
	s_delay_alu instid0(VALU_DEP_1)
	v_cmpx_gt_u32_e32 0x43800000, v8
	s_cbranch_execz .LBB16_30
; %bb.32:                               ;   in Loop: Header=BB16_31 Depth=1
	v_cmp_lt_u32_e32 vcc_lo, 0x3bffffff, v8
	s_mov_b32 s9, 0
                                        ; implicit-def: $vgpr8
	s_and_saveexec_b32 s10, vcc_lo
	s_delay_alu instid0(SALU_CYCLE_1)
	s_xor_b32 s10, exec_lo, s10
	s_cbranch_execnz .LBB16_35
; %bb.33:                               ;   in Loop: Header=BB16_31 Depth=1
	s_and_not1_saveexec_b32 s10, s10
	s_cbranch_execnz .LBB16_36
.LBB16_34:                              ;   in Loop: Header=BB16_31 Depth=1
	s_or_b32 exec_lo, exec_lo, s10
	v_mov_b32_e32 v9, 0
	s_and_saveexec_b32 s10, s9
	s_cbranch_execz .LBB16_29
	s_branch .LBB16_37
.LBB16_35:                              ;   in Loop: Header=BB16_31 Depth=1
	v_bfe_u32 v8, v7, 20, 1
	s_mov_b32 s9, exec_lo
	s_delay_alu instid0(VALU_DEP_1) | instskip(NEXT) | instid1(VALU_DEP_1)
	v_add3_u32 v8, v7, v8, 0x487ffff
	v_lshrrev_b32_e32 v8, 20, v8
	s_and_not1_saveexec_b32 s10, s10
	s_cbranch_execz .LBB16_34
.LBB16_36:                              ;   in Loop: Header=BB16_31 Depth=1
	v_add_f32_e64 v8, 0x46000000, |v7|
	s_and_not1_b32 s9, s9, exec_lo
	s_delay_alu instid0(VALU_DEP_1) | instskip(NEXT) | instid1(VALU_DEP_1)
	v_and_b32_e32 v8, 0xff, v8
	v_cmp_ne_u32_e32 vcc_lo, 0, v8
	s_and_b32 s11, vcc_lo, exec_lo
	s_delay_alu instid0(SALU_CYCLE_1)
	s_or_b32 s9, s9, s11
	s_or_b32 exec_lo, exec_lo, s10
	v_mov_b32_e32 v9, 0
	s_and_saveexec_b32 s10, s9
	s_cbranch_execz .LBB16_29
.LBB16_37:                              ;   in Loop: Header=BB16_31 Depth=1
	v_lshrrev_b32_e32 v7, 24, v7
	s_delay_alu instid0(VALU_DEP_1)
	v_and_or_b32 v9, 0x80, v7, v8
	s_branch .LBB16_29
.LBB16_38:
	s_or_b32 exec_lo, exec_lo, s4
	s_branch .LBB16_211
.LBB16_39:
	s_cbranch_execz .LBB16_211
; %bb.40:
	s_load_b32 s3, s[0:1], 0x38
	s_bfe_u32 s2, ttmp6, 0x4000c
	s_and_b32 s4, ttmp6, 15
	s_add_co_i32 s2, s2, 1
	s_mov_b32 s27, 0
	s_mul_i32 s2, ttmp9, s2
	v_mov_b32_e32 v2, 0
	s_add_co_i32 s4, s4, s2
	s_cmp_eq_u32 s26, 0
	s_wait_xcnt 0x0
	s_add_nc_u64 s[0:1], s[0:1], 56
	s_cselect_b32 s26, ttmp9, s4
	s_ashr_i32 s5, s23, 31
	s_mov_b32 s4, s23
	s_ashr_i32 s11, s23, 2
	s_mul_u64 s[24:25], s[4:5], s[26:27]
	v_cmp_gt_u32_e64 s2, s11, v0
	s_lshl_b64 s[4:5], s[24:25], 1
	s_delay_alu instid0(SALU_CYCLE_1)
	s_add_nc_u64 s[16:17], s[16:17], s[4:5]
	s_and_saveexec_b32 s4, s2
	s_cbranch_execz .LBB16_50
; %bb.41:
	s_wait_kmcnt 0x0
	s_cmp_lt_u32 s26, s3
	s_mov_b32 s7, s27
	s_cselect_b32 s6, 12, 18
	v_dual_mov_b32 v2, 0 :: v_dual_mov_b32 v1, v0
	s_add_nc_u64 s[6:7], s[0:1], s[6:7]
	s_mov_b32 s8, s27
	s_load_u16 s5, s[6:7], 0x0
                                        ; implicit-def: $sgpr10
	s_wait_kmcnt 0x0
	s_lshl_b32 s6, s5, 1
	s_mul_i32 s7, s5, 3
	s_add_co_i32 s9, s5, s5
	s_branch .LBB16_45
.LBB16_42:                              ;   in Loop: Header=BB16_45 Depth=1
	s_or_b32 exec_lo, exec_lo, s30
	s_delay_alu instid0(SALU_CYCLE_1)
	s_or_not1_b32 s30, s31, exec_lo
.LBB16_43:                              ;   in Loop: Header=BB16_45 Depth=1
	s_or_b32 exec_lo, exec_lo, s29
	s_delay_alu instid0(SALU_CYCLE_1) | instskip(SKIP_1) | instid1(SALU_CYCLE_1)
	s_and_not1_b32 s10, s10, exec_lo
	s_and_b32 s29, s30, exec_lo
	s_or_b32 s10, s10, s29
.LBB16_44:                              ;   in Loop: Header=BB16_45 Depth=1
	s_or_b32 exec_lo, exec_lo, s28
	s_delay_alu instid0(SALU_CYCLE_1) | instskip(NEXT) | instid1(SALU_CYCLE_1)
	s_and_b32 s28, exec_lo, s10
	s_or_b32 s8, s28, s8
	s_delay_alu instid0(SALU_CYCLE_1)
	s_and_not1_b32 exec_lo, exec_lo, s8
	s_cbranch_execz .LBB16_49
.LBB16_45:                              ; =>This Inner Loop Header: Depth=1
	global_load_b64 v[4:5], v1, s[16:17] scale_offset
	s_or_b32 s10, s10, exec_lo
	s_mov_b32 s28, exec_lo
	s_wait_loadcnt 0x0
	v_fma_mix_f32_bf16 v2, v4, v4, v2 op_sel_hi:[1,1,0]
	v_alignbit_b32 v3, v5, v4, 16
	s_delay_alu instid0(VALU_DEP_2) | instskip(NEXT) | instid1(VALU_DEP_1)
	v_fma_mix_f32_bf16 v2, v4, v4, v2 op_sel:[1,1,0] op_sel_hi:[1,1,0]
	v_fma_mix_f32_bf16 v2, v3, v3, v2 op_sel:[1,1,0] op_sel_hi:[1,1,0]
	v_add_nc_u32_e32 v3, s5, v1
	s_delay_alu instid0(VALU_DEP_2) | instskip(SKIP_1) | instid1(VALU_DEP_2)
	v_fma_mix_f32_bf16 v2, v5, v5, v2 op_sel:[1,1,0] op_sel_hi:[1,1,0]
	s_wait_xcnt 0x0
	v_cmpx_gt_u32_e64 s11, v3
	s_cbranch_execz .LBB16_44
; %bb.46:                               ;   in Loop: Header=BB16_45 Depth=1
	global_load_b64 v[4:5], v3, s[16:17] scale_offset
	s_mov_b32 s30, -1
	s_mov_b32 s29, exec_lo
	s_wait_loadcnt 0x0
	v_fma_mix_f32_bf16 v2, v4, v4, v2 op_sel_hi:[1,1,0]
	v_alignbit_b32 v6, v5, v4, 16
	s_delay_alu instid0(VALU_DEP_2) | instskip(SKIP_1) | instid1(VALU_DEP_2)
	v_fma_mix_f32_bf16 v2, v4, v4, v2 op_sel:[1,1,0] op_sel_hi:[1,1,0]
	v_add_nc_u32_e32 v4, s6, v1
	v_fma_mix_f32_bf16 v2, v6, v6, v2 op_sel:[1,1,0] op_sel_hi:[1,1,0]
	s_delay_alu instid0(VALU_DEP_1) | instskip(SKIP_1) | instid1(VALU_DEP_3)
	v_fma_mix_f32_bf16 v2, v5, v5, v2 op_sel:[1,1,0] op_sel_hi:[1,1,0]
	s_wait_xcnt 0x0
	v_cmpx_gt_u32_e64 s11, v4
	s_cbranch_execz .LBB16_43
; %bb.47:                               ;   in Loop: Header=BB16_45 Depth=1
	global_load_b64 v[4:5], v4, s[16:17] scale_offset
	s_mov_b32 s31, -1
	s_mov_b32 s30, exec_lo
	s_wait_loadcnt 0x0
	v_fma_mix_f32_bf16 v2, v4, v4, v2 op_sel_hi:[1,1,0]
	v_alignbit_b32 v6, v5, v4, 16
	s_delay_alu instid0(VALU_DEP_2) | instskip(SKIP_2) | instid1(VALU_DEP_2)
	v_fma_mix_f32_bf16 v2, v4, v4, v2 op_sel:[1,1,0] op_sel_hi:[1,1,0]
	s_wait_xcnt 0x0
	v_add_nc_u32_e32 v4, s7, v1
                                        ; implicit-def: $vgpr1
	v_fma_mix_f32_bf16 v2, v6, v6, v2 op_sel:[1,1,0] op_sel_hi:[1,1,0]
	s_delay_alu instid0(VALU_DEP_1) | instskip(NEXT) | instid1(VALU_DEP_3)
	v_fma_mix_f32_bf16 v2, v5, v5, v2 op_sel:[1,1,0] op_sel_hi:[1,1,0]
	v_cmpx_gt_u32_e64 s11, v4
	s_xor_b32 s30, exec_lo, s30
	s_cbranch_execz .LBB16_42
; %bb.48:                               ;   in Loop: Header=BB16_45 Depth=1
	global_load_b64 v[4:5], v4, s[16:17] scale_offset
	s_wait_loadcnt 0x0
	v_fma_mix_f32_bf16 v1, v4, v4, v2 op_sel_hi:[1,1,0]
	v_alignbit_b32 v2, v5, v4, 16
	s_wait_xcnt 0x0
	s_delay_alu instid0(VALU_DEP_2) | instskip(SKIP_1) | instid1(VALU_DEP_2)
	v_fma_mix_f32_bf16 v4, v4, v4, v1 op_sel:[1,1,0] op_sel_hi:[1,1,0]
	v_add3_u32 v1, s9, s5, v3
	v_fma_mix_f32_bf16 v2, v2, v2, v4 op_sel:[1,1,0] op_sel_hi:[1,1,0]
	s_delay_alu instid0(VALU_DEP_2) | instskip(NEXT) | instid1(VALU_DEP_2)
	v_cmp_le_u32_e32 vcc_lo, s11, v1
	v_fma_mix_f32_bf16 v2, v5, v5, v2 op_sel:[1,1,0] op_sel_hi:[1,1,0]
	s_or_not1_b32 s31, vcc_lo, exec_lo
	s_branch .LBB16_42
.LBB16_49:
	s_or_b32 exec_lo, exec_lo, s8
.LBB16_50:
	s_delay_alu instid0(SALU_CYCLE_1)
	s_or_b32 exec_lo, exec_lo, s4
	v_mbcnt_lo_u32_b32 v1, -1, 0
	s_wait_kmcnt 0x0
	s_cmp_lt_u32 s26, s3
	s_mov_b32 s5, 0
	s_cselect_b32 s4, 12, 18
	v_and_b32_e32 v5, 0x3c0, v0
	v_cmp_ne_u32_e32 vcc_lo, 63, v1
	s_add_nc_u64 s[0:1], s[0:1], s[4:5]
	v_cmp_eq_u32_e64 s6, 0, v1
	s_load_u16 s28, s[0:1], 0x0
	v_add_nc_u32_e32 v6, 1, v1
	v_add_co_ci_u32_e64 v3, null, 0, v1, vcc_lo
	v_cmp_gt_u32_e32 vcc_lo, 62, v1
	s_delay_alu instid0(VALU_DEP_2)
	v_lshlrev_b32_e32 v3, 2, v3
	v_cndmask_b32_e64 v7, 0, 2, vcc_lo
	v_cmp_gt_u32_e32 vcc_lo, 60, v1
	ds_bpermute_b32 v4, v3, v2
	s_wait_kmcnt 0x0
	v_sub_nc_u32_e64 v8, s28, v5 clamp
	s_delay_alu instid0(VALU_DEP_1)
	v_cmp_lt_u32_e64 s0, v6, v8
	v_cndmask_b32_e64 v6, 0, 4, vcc_lo
	v_cmp_gt_u32_e32 vcc_lo, 56, v1
	s_wait_dscnt 0x0
	v_add_f32_e32 v5, v2, v4
	v_add_lshl_u32 v4, v7, v1, 2
	v_add_nc_u32_e32 v7, 2, v1
	s_delay_alu instid0(VALU_DEP_3) | instskip(NEXT) | instid1(VALU_DEP_2)
	v_cndmask_b32_e64 v2, v2, v5, s0
	v_cmp_lt_u32_e64 s1, v7, v8
	v_cndmask_b32_e64 v7, 0, 8, vcc_lo
	v_cmp_gt_u32_e32 vcc_lo, 48, v1
	ds_bpermute_b32 v5, v4, v2
	s_wait_dscnt 0x0
	v_add_f32_e32 v9, v2, v5
	v_add_lshl_u32 v5, v6, v1, 2
	s_delay_alu instid0(VALU_DEP_2) | instskip(SKIP_4) | instid1(VALU_DEP_2)
	v_cndmask_b32_e64 v2, v2, v9, s1
	ds_bpermute_b32 v6, v5, v2
	s_wait_dscnt 0x0
	v_dual_add_f32 v10, v2, v6 :: v_dual_add_nc_u32 v9, 4, v1
	v_add_lshl_u32 v6, v7, v1, 2
	v_cmp_lt_u32_e64 s3, v9, v8
	v_cndmask_b32_e64 v9, 0, 16, vcc_lo
	s_delay_alu instid0(VALU_DEP_2) | instskip(SKIP_3) | instid1(VALU_DEP_1)
	v_cndmask_b32_e64 v2, v2, v10, s3
	ds_bpermute_b32 v7, v6, v2
	s_wait_dscnt 0x0
	v_dual_add_f32 v11, v2, v7 :: v_dual_add_nc_u32 v10, 8, v1
	v_cmp_lt_u32_e64 s4, v10, v8
	v_add_lshl_u32 v7, v9, v1, 2
	s_delay_alu instid0(VALU_DEP_2) | instskip(NEXT) | instid1(VALU_DEP_1)
	v_dual_add_nc_u32 v10, 16, v1 :: v_dual_cndmask_b32 v9, v2, v11, s4
	v_cmp_lt_u32_e64 s5, v10, v8
	ds_bpermute_b32 v2, v7, v9
	s_wait_dscnt 0x0
	v_dual_add_f32 v11, v9, v2 :: v_dual_lshlrev_b32 v2, 2, v1
	s_delay_alu instid0(VALU_DEP_1) | instskip(SKIP_3) | instid1(VALU_DEP_1)
	v_cndmask_b32_e64 v9, v9, v11, s5
	ds_bpermute_b32 v10, v2, v9 offset:128
	s_wait_dscnt 0x0
	v_dual_add_f32 v10, v9, v10 :: v_dual_bitop2_b32 v11, 32, v1 bitop3:0x54
	v_cmp_lt_u32_e64 s8, v11, v8
	s_delay_alu instid0(VALU_DEP_1)
	v_cndmask_b32_e64 v8, v9, v10, s8
	s_and_saveexec_b32 s7, s6
; %bb.51:
	v_lshrrev_b32_e32 v9, 4, v0
	s_delay_alu instid0(VALU_DEP_1)
	v_and_b32_e32 v9, 60, v9
	ds_store_b32 v9, v8
; %bb.52:
	s_or_b32 exec_lo, exec_lo, s7
	v_cmp_gt_u32_e64 s7, 16, v0
	s_wait_storecnt_dscnt 0x0
	s_barrier_signal -1
	s_barrier_wait -1
	s_and_saveexec_b32 s10, s7
	s_cbranch_execz .LBB16_54
; %bb.53:
	ds_load_b32 v8, v2
	v_and_b32_e32 v9, 15, v1
	s_add_co_i32 s9, s28, 63
	s_delay_alu instid0(SALU_CYCLE_1) | instskip(NEXT) | instid1(VALU_DEP_1)
	s_lshr_b32 s29, s9, 6
	v_cmp_ne_u32_e32 vcc_lo, 15, v9
	v_add_co_ci_u32_e64 v10, null, 0, v1, vcc_lo
	s_delay_alu instid0(VALU_DEP_1)
	v_lshlrev_b32_e32 v10, 2, v10
	v_cmp_gt_u32_e32 vcc_lo, 14, v9
	v_cmp_gt_u32_e64 s9, 12, v9
	v_add_nc_u32_e32 v13, 2, v9
	s_wait_dscnt 0x0
	ds_bpermute_b32 v10, v10, v8
	v_add_nc_u32_e32 v12, 1, v9
	v_cndmask_b32_e64 v11, 0, 2, vcc_lo
	s_delay_alu instid0(VALU_DEP_1)
	v_add_lshl_u32 v11, v11, v1, 2
	s_wait_dscnt 0x0
	v_add_f32_e32 v10, v8, v10
	v_cmp_gt_u32_e32 vcc_lo, s29, v12
	v_cndmask_b32_e64 v12, 0, 4, s9
	v_cmp_gt_u32_e64 s9, s29, v13
	s_delay_alu instid0(VALU_DEP_4) | instskip(NEXT) | instid1(VALU_DEP_3)
	v_cndmask_b32_e32 v10, v8, v10, vcc_lo
	v_add_lshl_u32 v12, v12, v1, 2
	ds_bpermute_b32 v11, v11, v10
	s_wait_dscnt 0x0
	v_add_f32_e32 v11, v10, v11
	s_delay_alu instid0(VALU_DEP_1) | instskip(SKIP_2) | instid1(VALU_DEP_1)
	v_cndmask_b32_e64 v10, v10, v11, s9
	ds_bpermute_b32 v11, v12, v10
	v_dual_add_nc_u32 v12, 4, v9 :: v_dual_add_nc_u32 v9, 8, v9
	v_cmp_gt_u32_e64 s9, s29, v12
	s_wait_dscnt 0x0
	v_add_f32_e32 v11, v10, v11
	s_delay_alu instid0(VALU_DEP_1) | instskip(SKIP_4) | instid1(VALU_DEP_1)
	v_dual_cndmask_b32 v10, v10, v11, s9 :: v_dual_bitop2_b32 v11, 32, v2 bitop3:0x54
	v_cmp_gt_u32_e64 s9, s29, v9
	ds_bpermute_b32 v11, v11, v10
	s_wait_dscnt 0x0
	v_add_f32_e32 v11, v10, v11
	v_cndmask_b32_e64 v9, v10, v11, s9
	s_delay_alu instid0(VALU_DEP_1)
	v_cndmask_b32_e32 v8, v8, v9, vcc_lo
.LBB16_54:
	s_or_b32 exec_lo, exec_lo, s10
	v_cmp_eq_u32_e64 s9, 0, v0
	s_and_saveexec_b32 s10, s9
	s_cbranch_execz .LBB16_56
; %bb.55:
	s_cvt_f32_i32 s23, s23
	s_delay_alu instid0(SALU_CYCLE_3) | instskip(SKIP_1) | instid1(VALU_DEP_2)
	v_div_scale_f32 v9, null, s23, s23, v8
	v_div_scale_f32 v12, vcc_lo, v8, s23, v8
	v_rcp_f32_e32 v10, v9
	v_nop
	s_delay_alu instid0(TRANS32_DEP_1) | instskip(NEXT) | instid1(VALU_DEP_1)
	v_fma_f32 v11, -v9, v10, 1.0
	v_fmac_f32_e32 v10, v11, v10
	s_delay_alu instid0(VALU_DEP_1) | instskip(NEXT) | instid1(VALU_DEP_1)
	v_mul_f32_e32 v11, v12, v10
	v_fma_f32 v13, -v9, v11, v12
	s_delay_alu instid0(VALU_DEP_1) | instskip(NEXT) | instid1(VALU_DEP_1)
	v_fmac_f32_e32 v11, v13, v10
	v_fma_f32 v9, -v9, v11, v12
	s_delay_alu instid0(VALU_DEP_1) | instskip(NEXT) | instid1(VALU_DEP_1)
	v_div_fmas_f32 v9, v9, v10, v11
	v_div_fixup_f32 v8, v9, s23, v8
	s_delay_alu instid0(VALU_DEP_1) | instskip(NEXT) | instid1(VALU_DEP_1)
	v_add_f32_e32 v8, s22, v8
	v_mul_f32_e32 v9, 0x4b800000, v8
	v_cmp_gt_f32_e32 vcc_lo, 0x800000, v8
	s_delay_alu instid0(VALU_DEP_2) | instskip(NEXT) | instid1(VALU_DEP_1)
	v_cndmask_b32_e32 v8, v8, v9, vcc_lo
	v_rsq_f32_e32 v8, v8
	v_nop
	s_delay_alu instid0(TRANS32_DEP_1) | instskip(NEXT) | instid1(VALU_DEP_1)
	v_mul_f32_e32 v9, 0x45800000, v8
	v_dual_cndmask_b32 v8, v8, v9 :: v_dual_mov_b32 v9, 0
	ds_store_b32 v9, v8 offset:256
.LBB16_56:
	s_or_b32 exec_lo, exec_lo, s10
	v_mov_b32_e32 v8, 0
	s_wait_dscnt 0x0
	s_barrier_signal -1
	s_barrier_wait -1
	ds_load_b32 v10, v8 offset:256
	s_and_saveexec_b32 s22, s2
	s_cbranch_execz .LBB16_66
; %bb.57:
	v_dual_mov_b32 v8, 0 :: v_dual_mov_b32 v9, v0
	s_lshl_b32 s23, s28, 1
	s_mul_i32 s30, s28, 3
	s_mov_b32 s29, 0
	s_add_co_i32 s31, s28, s28
                                        ; implicit-def: $sgpr33
	s_branch .LBB16_61
.LBB16_58:                              ;   in Loop: Header=BB16_61 Depth=1
	s_or_b32 exec_lo, exec_lo, s36
	s_delay_alu instid0(SALU_CYCLE_1)
	s_or_not1_b32 s10, s10, exec_lo
.LBB16_59:                              ;   in Loop: Header=BB16_61 Depth=1
	s_or_b32 exec_lo, exec_lo, s35
	s_delay_alu instid0(SALU_CYCLE_1) | instskip(SKIP_1) | instid1(SALU_CYCLE_1)
	s_and_not1_b32 s33, s33, exec_lo
	s_and_b32 s10, s10, exec_lo
	s_or_b32 s33, s33, s10
.LBB16_60:                              ;   in Loop: Header=BB16_61 Depth=1
	s_or_b32 exec_lo, exec_lo, s34
	s_delay_alu instid0(SALU_CYCLE_1) | instskip(NEXT) | instid1(SALU_CYCLE_1)
	s_and_b32 s10, exec_lo, s33
	s_or_b32 s29, s10, s29
	s_delay_alu instid0(SALU_CYCLE_1)
	s_and_not1_b32 exec_lo, exec_lo, s29
	s_cbranch_execz .LBB16_65
.LBB16_61:                              ; =>This Inner Loop Header: Depth=1
	s_clause 0x1
	global_load_b64 v[12:13], v9, s[16:17] scale_offset
	global_load_b64 v[14:15], v9, s[18:19] scale_offset
	s_or_b32 s33, s33, exec_lo
	s_mov_b32 s34, exec_lo
	s_wait_loadcnt 0x1
	v_and_b32_e32 v17, 0xffff0000, v12
	v_lshlrev_b32_e32 v11, 16, v12
	v_alignbit_b32 v12, v13, v12, 16
	v_and_b32_e32 v13, 0xffff0000, v13
	s_wait_loadcnt_dscnt 0x0
	v_dual_mul_f32 v17, v10, v17 :: v_dual_lshlrev_b32 v18, 16, v14
	v_mul_f32_e32 v11, v10, v11
	v_and_b32_e32 v12, 0xffff0000, v12
	v_mul_f32_e32 v13, v10, v13
	s_delay_alu instid0(VALU_DEP_4) | instskip(NEXT) | instid1(VALU_DEP_4)
	v_bfe_u32 v19, v17, 16, 1
	v_bfe_u32 v16, v11, 16, 1
	v_cmp_o_f32_e32 vcc_lo, v11, v11
	v_mul_f32_e32 v12, v10, v12
	s_delay_alu instid0(VALU_DEP_3) | instskip(NEXT) | instid1(VALU_DEP_2)
	v_add3_u32 v16, v11, v16, 0x7fff
	v_bfe_u32 v21, v12, 16, 1
	s_delay_alu instid0(VALU_DEP_2) | instskip(NEXT) | instid1(VALU_DEP_1)
	v_and_b32_e32 v16, 0xffff0000, v16
	v_cndmask_b32_e32 v11, 0x7fc00000, v16, vcc_lo
	v_add3_u32 v16, v17, v19, 0x7fff
	v_cmp_o_f32_e32 vcc_lo, v17, v17
	v_and_b32_e32 v19, 0xffff0000, v14
	v_alignbit_b32 v14, v15, v14, 16
	s_delay_alu instid0(VALU_DEP_4) | instskip(NEXT) | instid1(VALU_DEP_2)
	v_and_b32_e32 v16, 0xffff0000, v16
	v_and_b32_e32 v14, 0xffff0000, v14
	s_delay_alu instid0(VALU_DEP_2) | instskip(SKIP_1) | instid1(VALU_DEP_2)
	v_cndmask_b32_e32 v16, 0x7fc00000, v16, vcc_lo
	v_cmp_o_f32_e32 vcc_lo, v12, v12
	v_dual_mul_f32 v16, v16, v19 :: v_dual_mul_f32 v11, v11, v18
	v_max_num_f32_e32 v18, v8, v8
	s_delay_alu instid0(VALU_DEP_2) | instskip(NEXT) | instid1(VALU_DEP_1)
	v_bfe_u32 v20, v11, 16, 1
	v_add3_u32 v17, v11, v20, 0x7fff
	v_add3_u32 v20, v12, v21, 0x7fff
	v_bfe_u32 v21, v13, 16, 1
	s_delay_alu instid0(VALU_DEP_3) | instskip(NEXT) | instid1(VALU_DEP_3)
	v_and_b32_e32 v17, 0xffff0000, v17
	v_and_b32_e32 v19, 0xffff0000, v20
	v_bfe_u32 v20, v16, 16, 1
	s_delay_alu instid0(VALU_DEP_3) | instskip(NEXT) | instid1(VALU_DEP_3)
	v_max_num_f32_e64 v17, |v17|, |v17|
	v_cndmask_b32_e32 v12, 0x7fc00000, v19, vcc_lo
	s_delay_alu instid0(VALU_DEP_3)
	v_add3_u32 v19, v16, v20, 0x7fff
	v_cmp_u_f32_e32 vcc_lo, v11, v11
	v_and_b32_e32 v11, 0xffff0000, v15
	v_max_num_f32_e32 v17, v18, v17
	v_add3_u32 v18, v13, v21, 0x7fff
	v_mul_f32_e32 v12, v12, v14
	v_and_b32_e32 v14, 0xffff0000, v19
	s_delay_alu instid0(VALU_DEP_4) | instskip(NEXT) | instid1(VALU_DEP_4)
	v_cndmask_b32_e32 v8, v17, v8, vcc_lo
	v_and_b32_e32 v15, 0xffff0000, v18
	s_delay_alu instid0(VALU_DEP_4) | instskip(SKIP_2) | instid1(VALU_DEP_4)
	v_bfe_u32 v17, v12, 16, 1
	v_cmp_o_f32_e32 vcc_lo, v13, v13
	v_max_num_f32_e64 v14, |v14|, |v14|
	v_dual_max_num_f32 v18, v8, v8 :: v_dual_cndmask_b32 v13, 0x7fc00000, v15
	s_delay_alu instid0(VALU_DEP_4) | instskip(NEXT) | instid1(VALU_DEP_2)
	v_add3_u32 v15, v12, v17, 0x7fff
	v_max_num_f32_e32 v14, v18, v14
	v_cmp_u_f32_e32 vcc_lo, v16, v16
	s_delay_alu instid0(VALU_DEP_4) | instskip(NEXT) | instid1(VALU_DEP_4)
	v_mul_f32_e32 v13, v13, v11
	v_and_b32_e32 v11, 0xffff0000, v15
	s_delay_alu instid0(VALU_DEP_1) | instskip(SKIP_1) | instid1(VALU_DEP_4)
	v_max_num_f32_e64 v11, |v11|, |v11|
	v_cndmask_b32_e32 v8, v14, v8, vcc_lo
	v_bfe_u32 v14, v13, 16, 1
	v_cmp_u_f32_e32 vcc_lo, v12, v12
	s_delay_alu instid0(VALU_DEP_3) | instskip(NEXT) | instid1(VALU_DEP_3)
	v_max_num_f32_e32 v15, v8, v8
	v_add3_u32 v14, v13, v14, 0x7fff
	s_delay_alu instid0(VALU_DEP_2) | instskip(NEXT) | instid1(VALU_DEP_2)
	v_max_num_f32_e32 v11, v15, v11
	v_and_b32_e32 v14, 0xffff0000, v14
	s_delay_alu instid0(VALU_DEP_2) | instskip(NEXT) | instid1(VALU_DEP_2)
	v_cndmask_b32_e32 v8, v11, v8, vcc_lo
	v_max_num_f32_e64 v11, |v14|, |v14|
	v_cmp_u_f32_e32 vcc_lo, v13, v13
	s_delay_alu instid0(VALU_DEP_3) | instskip(NEXT) | instid1(VALU_DEP_1)
	v_max_num_f32_e32 v12, v8, v8
	v_dual_max_num_f32 v12, v12, v11 :: v_dual_add_nc_u32 v11, s28, v9
	s_delay_alu instid0(VALU_DEP_1) | instskip(NEXT) | instid1(VALU_DEP_2)
	v_cndmask_b32_e32 v8, v12, v8, vcc_lo
	v_cmpx_gt_u32_e64 s11, v11
	s_cbranch_execz .LBB16_60
; %bb.62:                               ;   in Loop: Header=BB16_61 Depth=1
	s_clause 0x1
	global_load_b64 v[12:13], v11, s[16:17] scale_offset
	global_load_b64 v[14:15], v11, s[18:19] scale_offset
	s_mov_b32 s10, -1
	s_mov_b32 s35, exec_lo
	s_wait_loadcnt 0x1
	v_and_b32_e32 v18, 0xffff0000, v12
	v_lshlrev_b32_e32 v16, 16, v12
	v_alignbit_b32 v12, v13, v12, 16
	v_and_b32_e32 v13, 0xffff0000, v13
	s_wait_loadcnt 0x0
	v_lshlrev_b32_e32 v19, 16, v14
	v_dual_mul_f32 v18, v10, v18 :: v_dual_mul_f32 v16, v10, v16
	v_and_b32_e32 v12, 0xffff0000, v12
	v_mul_f32_e32 v13, v10, v13
	s_delay_alu instid0(VALU_DEP_3) | instskip(NEXT) | instid1(VALU_DEP_4)
	v_bfe_u32 v20, v18, 16, 1
	v_bfe_u32 v17, v16, 16, 1
	v_cmp_o_f32_e32 vcc_lo, v16, v16
	v_mul_f32_e32 v12, v10, v12
	s_delay_alu instid0(VALU_DEP_3) | instskip(NEXT) | instid1(VALU_DEP_2)
	v_add3_u32 v17, v16, v17, 0x7fff
	v_bfe_u32 v22, v12, 16, 1
	s_delay_alu instid0(VALU_DEP_2) | instskip(NEXT) | instid1(VALU_DEP_1)
	v_and_b32_e32 v17, 0xffff0000, v17
	v_cndmask_b32_e32 v16, 0x7fc00000, v17, vcc_lo
	v_add3_u32 v17, v18, v20, 0x7fff
	v_cmp_o_f32_e32 vcc_lo, v18, v18
	v_and_b32_e32 v20, 0xffff0000, v14
	v_alignbit_b32 v14, v15, v14, 16
	v_mul_f32_e32 v16, v16, v19
	v_and_b32_e32 v17, 0xffff0000, v17
	v_max_num_f32_e32 v19, v8, v8
	v_and_b32_e32 v15, 0xffff0000, v15
	v_and_b32_e32 v14, 0xffff0000, v14
	v_bfe_u32 v21, v16, 16, 1
	s_delay_alu instid0(VALU_DEP_1) | instskip(SKIP_2) | instid1(VALU_DEP_3)
	v_add3_u32 v18, v16, v21, 0x7fff
	v_add3_u32 v21, v12, v22, 0x7fff
	v_bfe_u32 v22, v13, 16, 1
	v_and_b32_e32 v18, 0xffff0000, v18
	s_delay_alu instid0(VALU_DEP_1) | instskip(SKIP_2) | instid1(VALU_DEP_2)
	v_max_num_f32_e64 v18, |v18|, |v18|
	v_cndmask_b32_e32 v17, 0x7fc00000, v17, vcc_lo
	v_cmp_o_f32_e32 vcc_lo, v12, v12
	v_dual_max_num_f32 v18, v19, v18 :: v_dual_mul_f32 v17, v17, v20
	v_and_b32_e32 v20, 0xffff0000, v21
	v_add3_u32 v19, v13, v22, 0x7fff
	s_delay_alu instid0(VALU_DEP_3) | instskip(NEXT) | instid1(VALU_DEP_3)
	v_bfe_u32 v21, v17, 16, 1
	v_cndmask_b32_e32 v12, 0x7fc00000, v20, vcc_lo
	v_cmp_u_f32_e32 vcc_lo, v16, v16
	s_delay_alu instid0(VALU_DEP_4) | instskip(NEXT) | instid1(VALU_DEP_4)
	v_and_b32_e32 v16, 0xffff0000, v19
	v_add3_u32 v20, v17, v21, 0x7fff
	v_cndmask_b32_e32 v8, v18, v8, vcc_lo
	v_cmp_o_f32_e32 vcc_lo, v13, v13
	s_delay_alu instid0(VALU_DEP_4) | instskip(SKIP_1) | instid1(VALU_DEP_2)
	v_cndmask_b32_e32 v13, 0x7fc00000, v16, vcc_lo
	v_cmp_u_f32_e32 vcc_lo, v17, v17
	v_dual_max_num_f32 v19, v8, v8 :: v_dual_mul_f32 v13, v13, v15
	v_mul_f32_e32 v12, v12, v14
	v_and_b32_e32 v14, 0xffff0000, v20
	s_delay_alu instid0(VALU_DEP_1) | instskip(NEXT) | instid1(VALU_DEP_1)
	v_max_num_f32_e64 v14, |v14|, |v14|
	v_max_num_f32_e32 v14, v19, v14
	s_delay_alu instid0(VALU_DEP_4) | instskip(NEXT) | instid1(VALU_DEP_2)
	v_bfe_u32 v18, v12, 16, 1
	v_cndmask_b32_e32 v8, v14, v8, vcc_lo
	s_delay_alu instid0(VALU_DEP_2) | instskip(SKIP_2) | instid1(VALU_DEP_3)
	v_add3_u32 v16, v12, v18, 0x7fff
	v_bfe_u32 v14, v13, 16, 1
	v_cmp_u_f32_e32 vcc_lo, v12, v12
	v_and_b32_e32 v15, 0xffff0000, v16
	v_max_num_f32_e32 v16, v8, v8
	s_delay_alu instid0(VALU_DEP_4) | instskip(NEXT) | instid1(VALU_DEP_3)
	v_add3_u32 v14, v13, v14, 0x7fff
	v_max_num_f32_e64 v15, |v15|, |v15|
	s_delay_alu instid0(VALU_DEP_2) | instskip(NEXT) | instid1(VALU_DEP_2)
	v_and_b32_e32 v14, 0xffff0000, v14
	v_max_num_f32_e32 v15, v16, v15
	s_delay_alu instid0(VALU_DEP_2) | instskip(NEXT) | instid1(VALU_DEP_2)
	v_max_num_f32_e64 v12, |v14|, |v14|
	v_cndmask_b32_e32 v8, v15, v8, vcc_lo
	v_cmp_u_f32_e32 vcc_lo, v13, v13
	s_delay_alu instid0(VALU_DEP_2) | instskip(NEXT) | instid1(VALU_DEP_1)
	v_max_num_f32_e32 v14, v8, v8
	v_dual_max_num_f32 v14, v14, v12 :: v_dual_add_nc_u32 v12, s23, v9
	s_delay_alu instid0(VALU_DEP_1) | instskip(NEXT) | instid1(VALU_DEP_2)
	v_cndmask_b32_e32 v8, v14, v8, vcc_lo
	v_cmpx_gt_u32_e64 s11, v12
	s_cbranch_execz .LBB16_59
; %bb.63:                               ;   in Loop: Header=BB16_61 Depth=1
	s_clause 0x1
	global_load_b64 v[14:15], v12, s[16:17] scale_offset
	global_load_b64 v[16:17], v12, s[18:19] scale_offset
	s_mov_b32 s36, exec_lo
	s_wait_loadcnt 0x0
	v_dual_lshlrev_b32 v12, 16, v14 :: v_dual_lshlrev_b32 v19, 16, v16
	v_and_b32_e32 v18, 0xffff0000, v14
	v_alignbit_b32 v14, v15, v14, 16
	v_and_b32_e32 v15, 0xffff0000, v15
	s_delay_alu instid0(VALU_DEP_3) | instskip(NEXT) | instid1(VALU_DEP_2)
	v_dual_mul_f32 v12, v10, v12 :: v_dual_mul_f32 v18, v10, v18
	v_mul_f32_e32 v15, v10, v15
	s_delay_alu instid0(VALU_DEP_2) | instskip(SKIP_1) | instid1(VALU_DEP_4)
	v_bfe_u32 v13, v12, 16, 1
	v_cmp_o_f32_e32 vcc_lo, v12, v12
	v_bfe_u32 v20, v18, 16, 1
	s_delay_alu instid0(VALU_DEP_3) | instskip(NEXT) | instid1(VALU_DEP_1)
	v_add3_u32 v13, v12, v13, 0x7fff
	v_and_b32_e32 v13, 0xffff0000, v13
	s_delay_alu instid0(VALU_DEP_1)
	v_cndmask_b32_e32 v12, 0x7fc00000, v13, vcc_lo
	v_and_b32_e32 v13, 0xffff0000, v14
	v_add3_u32 v14, v18, v20, 0x7fff
	v_and_b32_e32 v20, 0xffff0000, v16
	v_cmp_o_f32_e32 vcc_lo, v18, v18
	v_alignbit_b32 v16, v17, v16, 16
	v_mul_f32_e32 v13, v10, v13
	v_and_b32_e32 v14, 0xffff0000, v14
	s_delay_alu instid0(VALU_DEP_3) | instskip(NEXT) | instid1(VALU_DEP_3)
	v_and_b32_e32 v16, 0xffff0000, v16
	v_bfe_u32 v22, v13, 16, 1
	s_delay_alu instid0(VALU_DEP_3) | instskip(SKIP_3) | instid1(VALU_DEP_4)
	v_cndmask_b32_e32 v14, 0x7fc00000, v14, vcc_lo
	v_mul_f32_e32 v12, v12, v19
	v_max_num_f32_e32 v19, v8, v8
	v_cmp_o_f32_e32 vcc_lo, v13, v13
	v_mul_f32_e32 v14, v14, v20
	s_delay_alu instid0(VALU_DEP_4) | instskip(NEXT) | instid1(VALU_DEP_1)
	v_bfe_u32 v21, v12, 16, 1
	v_add3_u32 v18, v12, v21, 0x7fff
	v_add3_u32 v21, v13, v22, 0x7fff
	v_bfe_u32 v22, v15, 16, 1
	s_delay_alu instid0(VALU_DEP_3) | instskip(NEXT) | instid1(VALU_DEP_3)
	v_and_b32_e32 v18, 0xffff0000, v18
	v_and_b32_e32 v20, 0xffff0000, v21
	v_bfe_u32 v21, v14, 16, 1
	s_delay_alu instid0(VALU_DEP_3) | instskip(NEXT) | instid1(VALU_DEP_3)
	v_max_num_f32_e64 v18, |v18|, |v18|
	v_cndmask_b32_e32 v13, 0x7fc00000, v20, vcc_lo
	s_delay_alu instid0(VALU_DEP_3)
	v_add3_u32 v20, v14, v21, 0x7fff
	v_cmp_u_f32_e32 vcc_lo, v12, v12
	v_and_b32_e32 v12, 0xffff0000, v17
	v_max_num_f32_e32 v18, v19, v18
	v_add3_u32 v19, v15, v22, 0x7fff
	v_mul_f32_e32 v13, v13, v16
	v_and_b32_e32 v16, 0xffff0000, v20
	s_delay_alu instid0(VALU_DEP_4) | instskip(NEXT) | instid1(VALU_DEP_4)
	v_cndmask_b32_e32 v8, v18, v8, vcc_lo
	v_and_b32_e32 v17, 0xffff0000, v19
	v_cmp_o_f32_e32 vcc_lo, v15, v15
	s_delay_alu instid0(VALU_DEP_4) | instskip(SKIP_4) | instid1(VALU_DEP_4)
	v_max_num_f32_e64 v16, |v16|, |v16|
	v_bfe_u32 v18, v13, 16, 1
	v_max_num_f32_e32 v19, v8, v8
	v_cndmask_b32_e32 v15, 0x7fc00000, v17, vcc_lo
	v_cmp_u_f32_e32 vcc_lo, v14, v14
	v_add3_u32 v17, v13, v18, 0x7fff
	s_delay_alu instid0(VALU_DEP_4) | instskip(NEXT) | instid1(VALU_DEP_1)
	v_max_num_f32_e32 v16, v19, v16
	v_cndmask_b32_e32 v8, v16, v8, vcc_lo
	v_cmp_u_f32_e32 vcc_lo, v13, v13
	s_delay_alu instid0(VALU_DEP_2) | instskip(SKIP_2) | instid1(VALU_DEP_1)
	v_max_num_f32_e32 v16, v8, v8
	v_mul_f32_e32 v15, v15, v12
	v_and_b32_e32 v12, 0xffff0000, v17
	v_max_num_f32_e64 v12, |v12|, |v12|
	s_delay_alu instid0(VALU_DEP_1) | instskip(NEXT) | instid1(VALU_DEP_4)
	v_max_num_f32_e32 v12, v16, v12
	v_bfe_u32 v14, v15, 16, 1
	s_delay_alu instid0(VALU_DEP_2) | instskip(NEXT) | instid1(VALU_DEP_2)
	v_cndmask_b32_e32 v8, v12, v8, vcc_lo
	v_add3_u32 v14, v15, v14, 0x7fff
	v_cmp_u_f32_e32 vcc_lo, v15, v15
	s_delay_alu instid0(VALU_DEP_3) | instskip(NEXT) | instid1(VALU_DEP_3)
	v_max_num_f32_e32 v13, v8, v8
	v_and_b32_e32 v14, 0xffff0000, v14
	s_delay_alu instid0(VALU_DEP_1) | instskip(NEXT) | instid1(VALU_DEP_1)
	v_max_num_f32_e64 v12, |v14|, |v14|
	v_dual_max_num_f32 v13, v13, v12 :: v_dual_add_nc_u32 v12, s30, v9
                                        ; implicit-def: $vgpr9
	s_delay_alu instid0(VALU_DEP_1) | instskip(NEXT) | instid1(VALU_DEP_2)
	v_cndmask_b32_e32 v8, v13, v8, vcc_lo
	v_cmpx_gt_u32_e64 s11, v12
	s_xor_b32 s36, exec_lo, s36
	s_cbranch_execz .LBB16_58
; %bb.64:                               ;   in Loop: Header=BB16_61 Depth=1
	s_clause 0x1
	global_load_b64 v[14:15], v12, s[16:17] scale_offset
	global_load_b64 v[16:17], v12, s[18:19] scale_offset
	s_wait_loadcnt 0x1
	v_and_b32_e32 v13, 0xffff0000, v14
	v_lshlrev_b32_e32 v9, 16, v14
	v_alignbit_b32 v14, v15, v14, 16
	v_and_b32_e32 v15, 0xffff0000, v15
	s_wait_loadcnt 0x0
	v_dual_mul_f32 v13, v10, v13 :: v_dual_lshlrev_b32 v18, 16, v16
	s_delay_alu instid0(VALU_DEP_2) | instskip(NEXT) | instid1(VALU_DEP_2)
	v_dual_mul_f32 v9, v10, v9 :: v_dual_mul_f32 v15, v10, v15
	v_bfe_u32 v19, v13, 16, 1
	s_delay_alu instid0(VALU_DEP_2) | instskip(SKIP_1) | instid1(VALU_DEP_2)
	v_bfe_u32 v12, v9, 16, 1
	v_cmp_o_f32_e32 vcc_lo, v9, v9
	v_add3_u32 v12, v9, v12, 0x7fff
	s_delay_alu instid0(VALU_DEP_1) | instskip(NEXT) | instid1(VALU_DEP_1)
	v_and_b32_e32 v12, 0xffff0000, v12
	v_cndmask_b32_e32 v9, 0x7fc00000, v12, vcc_lo
	v_and_b32_e32 v12, 0xffff0000, v14
	v_add3_u32 v14, v13, v19, 0x7fff
	v_cmp_o_f32_e32 vcc_lo, v13, v13
	s_delay_alu instid0(VALU_DEP_3) | instskip(NEXT) | instid1(VALU_DEP_3)
	v_dual_mul_f32 v12, v10, v12 :: v_dual_mul_f32 v9, v9, v18
	v_and_b32_e32 v14, 0xffff0000, v14
	v_and_b32_e32 v18, 0xffff0000, v16
	v_alignbit_b32 v16, v17, v16, 16
	s_delay_alu instid0(VALU_DEP_4) | instskip(SKIP_1) | instid1(VALU_DEP_3)
	v_bfe_u32 v20, v12, 16, 1
	v_and_b32_e32 v17, 0xffff0000, v17
	v_and_b32_e32 v16, 0xffff0000, v16
	v_dual_cndmask_b32 v13, 0x7fc00000, v14 :: v_dual_max_num_f32 v14, v8, v8
	v_bfe_u32 v19, v9, 16, 1
	v_add3_u32 v20, v12, v20, 0x7fff
	v_cmp_o_f32_e32 vcc_lo, v12, v12
	s_delay_alu instid0(VALU_DEP_4) | instskip(NEXT) | instid1(VALU_DEP_4)
	v_mul_f32_e32 v13, v13, v18
	v_add3_u32 v19, v9, v19, 0x7fff
	s_delay_alu instid0(VALU_DEP_1) | instskip(SKIP_1) | instid1(VALU_DEP_4)
	v_and_b32_e32 v18, 0xffff0000, v19
	v_and_b32_e32 v19, 0xffff0000, v20
	v_bfe_u32 v20, v13, 16, 1
	s_delay_alu instid0(VALU_DEP_3) | instskip(NEXT) | instid1(VALU_DEP_3)
	v_max_num_f32_e64 v18, |v18|, |v18|
	v_cndmask_b32_e32 v12, 0x7fc00000, v19, vcc_lo
	v_cmp_u_f32_e32 vcc_lo, v9, v9
	s_delay_alu instid0(VALU_DEP_4) | instskip(NEXT) | instid1(VALU_DEP_4)
	v_add3_u32 v19, v13, v20, 0x7fff
	v_max_num_f32_e32 v14, v14, v18
	v_bfe_u32 v18, v15, 16, 1
	s_delay_alu instid0(VALU_DEP_2) | instskip(NEXT) | instid1(VALU_DEP_2)
	v_cndmask_b32_e32 v8, v14, v8, vcc_lo
	v_add3_u32 v9, v15, v18, 0x7fff
	v_cmp_o_f32_e32 vcc_lo, v15, v15
	s_delay_alu instid0(VALU_DEP_3) | instskip(NEXT) | instid1(VALU_DEP_3)
	v_max_num_f32_e32 v18, v8, v8
	v_and_b32_e32 v9, 0xffff0000, v9
	s_delay_alu instid0(VALU_DEP_1) | instskip(SKIP_1) | instid1(VALU_DEP_2)
	v_cndmask_b32_e32 v9, 0x7fc00000, v9, vcc_lo
	v_cmp_u_f32_e32 vcc_lo, v13, v13
	v_dual_mul_f32 v13, v9, v17 :: v_dual_mul_f32 v12, v12, v16
	v_and_b32_e32 v16, 0xffff0000, v19
	s_delay_alu instid0(VALU_DEP_2) | instskip(NEXT) | instid1(VALU_DEP_3)
	v_bfe_u32 v15, v13, 16, 1
	v_bfe_u32 v14, v12, 16, 1
	s_delay_alu instid0(VALU_DEP_3) | instskip(SKIP_1) | instid1(VALU_DEP_3)
	v_max_num_f32_e64 v16, |v16|, |v16|
	v_cmp_u_f32_e64 s10, v13, v13
	v_add3_u32 v14, v12, v14, 0x7fff
	s_delay_alu instid0(VALU_DEP_3) | instskip(NEXT) | instid1(VALU_DEP_2)
	v_max_num_f32_e32 v16, v18, v16
	v_and_b32_e32 v14, 0xffff0000, v14
	s_delay_alu instid0(VALU_DEP_2) | instskip(SKIP_1) | instid1(VALU_DEP_3)
	v_cndmask_b32_e32 v8, v16, v8, vcc_lo
	v_cmp_u_f32_e32 vcc_lo, v12, v12
	v_max_num_f32_e64 v9, |v14|, |v14|
	s_delay_alu instid0(VALU_DEP_3) | instskip(NEXT) | instid1(VALU_DEP_1)
	v_max_num_f32_e32 v14, v8, v8
	v_max_num_f32_e32 v9, v14, v9
	v_add3_u32 v14, v13, v15, 0x7fff
	s_delay_alu instid0(VALU_DEP_2) | instskip(NEXT) | instid1(VALU_DEP_2)
	v_cndmask_b32_e32 v8, v9, v8, vcc_lo
	v_and_b32_e32 v9, 0xffff0000, v14
	s_delay_alu instid0(VALU_DEP_2) | instskip(NEXT) | instid1(VALU_DEP_2)
	v_max_num_f32_e32 v12, v8, v8
	v_max_num_f32_e64 v14, |v9|, |v9|
	v_add3_u32 v9, s31, s28, v11
	s_delay_alu instid0(VALU_DEP_2) | instskip(NEXT) | instid1(VALU_DEP_2)
	v_max_num_f32_e32 v11, v12, v14
	v_cmp_le_u32_e32 vcc_lo, s11, v9
	s_delay_alu instid0(VALU_DEP_2)
	v_cndmask_b32_e64 v8, v11, v8, s10
	s_or_not1_b32 s10, vcc_lo, exec_lo
	s_branch .LBB16_58
.LBB16_65:
	s_or_b32 exec_lo, exec_lo, s29
.LBB16_66:
	s_delay_alu instid0(SALU_CYCLE_1)
	s_or_b32 exec_lo, exec_lo, s22
	ds_bpermute_b32 v3, v3, v8
	v_or_b32_e32 v9, 0x80, v2
	s_wait_dscnt 0x0
	v_cmp_lt_f32_e32 vcc_lo, v8, v3
	v_cndmask_b32_e32 v3, v8, v3, vcc_lo
	s_delay_alu instid0(VALU_DEP_1) | instskip(SKIP_1) | instid1(SALU_CYCLE_1)
	v_cndmask_b32_e64 v3, v8, v3, s0
	s_or_b32 s0, s0, s1
	s_or_b32 s0, s3, s0
	s_delay_alu instid0(SALU_CYCLE_1)
	s_or_b32 s0, s4, s0
	ds_bpermute_b32 v4, v4, v3
	s_or_b32 s0, s5, s0
	s_wait_dscnt 0x0
	v_cmp_lt_f32_e32 vcc_lo, v3, v4
	v_cndmask_b32_e32 v4, v3, v4, vcc_lo
	s_delay_alu instid0(VALU_DEP_1) | instskip(SKIP_4) | instid1(VALU_DEP_1)
	v_cndmask_b32_e64 v3, v3, v4, s1
	ds_bpermute_b32 v4, v5, v3
	s_wait_dscnt 0x0
	v_cmp_lt_f32_e32 vcc_lo, v3, v4
	v_cndmask_b32_e32 v4, v3, v4, vcc_lo
	v_cndmask_b32_e64 v3, v3, v4, s3
	ds_bpermute_b32 v4, v6, v3
	s_wait_dscnt 0x0
	v_cmp_lt_f32_e32 vcc_lo, v3, v4
	v_cndmask_b32_e32 v4, v3, v4, vcc_lo
	s_delay_alu instid0(VALU_DEP_1) | instskip(SKIP_4) | instid1(VALU_DEP_1)
	v_cndmask_b32_e64 v3, v3, v4, s4
	ds_bpermute_b32 v4, v7, v3
	s_wait_dscnt 0x0
	v_cmp_lt_f32_e32 vcc_lo, v3, v4
	v_cndmask_b32_e32 v4, v3, v4, vcc_lo
	v_cndmask_b32_e64 v3, v3, v4, s5
	ds_bpermute_b32 v4, v9, v3
	s_wait_dscnt 0x0
	v_cmp_lt_f32_e32 vcc_lo, v3, v4
	s_and_b32 vcc_lo, s8, vcc_lo
	v_cndmask_b32_e32 v3, v3, v4, vcc_lo
	s_or_b32 vcc_lo, s8, s0
	s_delay_alu instid0(VALU_DEP_1)
	v_cndmask_b32_e32 v3, v8, v3, vcc_lo
	s_and_saveexec_b32 s0, s6
; %bb.67:
	v_lshrrev_b32_e32 v4, 4, v0
	s_delay_alu instid0(VALU_DEP_1)
	v_and_b32_e32 v4, 60, v4
	ds_store_b32 v4, v3 offset:64
; %bb.68:
	s_or_b32 exec_lo, exec_lo, s0
	s_wait_dscnt 0x0
	s_barrier_signal -1
	s_barrier_wait -1
	s_and_saveexec_b32 s3, s7
	s_cbranch_execz .LBB16_70
; %bb.69:
	ds_load_b32 v3, v2 offset:64
	v_and_b32_e32 v4, 15, v1
	s_add_co_i32 s0, s28, 63
	v_or_b32_e32 v2, 32, v2
	s_lshr_b32 s1, s0, 6
	s_delay_alu instid0(VALU_DEP_2) | instskip(SKIP_4) | instid1(VALU_DEP_3)
	v_cmp_ne_u32_e32 vcc_lo, 15, v4
	v_add_nc_u32_e32 v6, 1, v4
	v_cmp_gt_u32_e64 s0, 12, v4
	v_add_co_ci_u32_e64 v5, null, 0, v1, vcc_lo
	v_cmp_gt_u32_e32 vcc_lo, 14, v4
	v_cndmask_b32_e64 v8, 0, 4, s0
	s_delay_alu instid0(VALU_DEP_3)
	v_lshlrev_b32_e32 v5, 2, v5
	v_cndmask_b32_e64 v7, 0, 2, vcc_lo
	s_wait_dscnt 0x0
	ds_bpermute_b32 v5, v5, v3
	v_add_lshl_u32 v7, v7, v1, 2
	v_add_lshl_u32 v1, v8, v1, 2
	s_wait_dscnt 0x0
	v_cmp_lt_f32_e32 vcc_lo, v3, v5
	v_cndmask_b32_e32 v5, v3, v5, vcc_lo
	v_cmp_gt_u32_e32 vcc_lo, s1, v6
	s_delay_alu instid0(VALU_DEP_2) | instskip(SKIP_3) | instid1(VALU_DEP_1)
	v_cndmask_b32_e32 v5, v3, v5, vcc_lo
	ds_bpermute_b32 v6, v7, v5
	s_wait_dscnt 0x0
	v_cmp_lt_f32_e64 s0, v5, v6
	v_dual_cndmask_b32 v6, v5, v6, s0 :: v_dual_add_nc_u32 v7, 2, v4
	s_delay_alu instid0(VALU_DEP_1) | instskip(NEXT) | instid1(VALU_DEP_1)
	v_cmp_gt_u32_e64 s0, s1, v7
	v_dual_cndmask_b32 v5, v5, v6, s0 :: v_dual_add_nc_u32 v6, 4, v4
	v_add_nc_u32_e32 v4, 8, v4
	ds_bpermute_b32 v1, v1, v5
	s_wait_dscnt 0x0
	v_cmp_lt_f32_e64 s0, v5, v1
	s_delay_alu instid0(VALU_DEP_1) | instskip(SKIP_1) | instid1(VALU_DEP_1)
	v_cndmask_b32_e64 v1, v5, v1, s0
	v_cmp_gt_u32_e64 s0, s1, v6
	v_cndmask_b32_e64 v1, v5, v1, s0
	v_cmp_gt_u32_e64 s0, s1, v4
	ds_bpermute_b32 v2, v2, v1
	s_wait_dscnt 0x0
	v_cmp_lt_f32_e64 s1, v1, v2
	s_and_b32 s0, s0, s1
	s_delay_alu instid0(SALU_CYCLE_1) | instskip(NEXT) | instid1(VALU_DEP_1)
	v_cndmask_b32_e64 v1, v1, v2, s0
	v_cndmask_b32_e32 v3, v3, v1, vcc_lo
.LBB16_70:
	s_or_b32 exec_lo, exec_lo, s3
	s_and_saveexec_b32 s0, s9
	s_cbranch_execz .LBB16_74
; %bb.71:
	s_cmp_eq_u64 s[20:21], 0
	s_cbranch_scc1 .LBB16_73
; %bb.72:
	v_dual_mov_b32 v1, 0 :: v_dual_max_num_f32 v2, v3, v3
	global_load_b32 v1, v1, s[20:21]
	s_wait_loadcnt 0x0
	v_max_num_f32_e32 v1, v1, v1
	s_delay_alu instid0(VALU_DEP_1)
	v_min_num_f32_e32 v3, v2, v1
.LBB16_73:
	s_delay_alu instid0(VALU_DEP_1)
	v_div_scale_f32 v1, null, 0x43600000, 0x43600000, v3
	v_div_scale_f32 v5, vcc_lo, v3, 0x43600000, v3
	s_lshl_b64 s[4:5], s[26:27], 2
	v_rcp_f32_e32 v2, v1
	s_add_nc_u64 s[4:5], s[14:15], s[4:5]
	v_nop
	s_delay_alu instid0(TRANS32_DEP_1) | instskip(NEXT) | instid1(VALU_DEP_1)
	v_fma_f32 v4, -v1, v2, 1.0
	v_fmac_f32_e32 v2, v4, v2
	s_delay_alu instid0(VALU_DEP_1) | instskip(NEXT) | instid1(VALU_DEP_1)
	v_mul_f32_e32 v4, v5, v2
	v_fma_f32 v6, -v1, v4, v5
	s_delay_alu instid0(VALU_DEP_1) | instskip(NEXT) | instid1(VALU_DEP_1)
	v_fmac_f32_e32 v4, v6, v2
	v_fma_f32 v1, -v1, v4, v5
	s_delay_alu instid0(VALU_DEP_1) | instskip(SKIP_1) | instid1(VALU_DEP_2)
	v_div_fmas_f32 v1, v1, v2, v4
	v_mov_b32_e32 v2, 0
	v_div_fixup_f32 v1, v1, 0x43600000, v3
	s_delay_alu instid0(VALU_DEP_1)
	v_max_num_f32_e32 v1, 0x37124925, v1
	ds_store_b32 v2, v1 offset:260
	global_store_b32 v2, v1, s[4:5]
.LBB16_74:
	s_wait_xcnt 0x0
	s_or_b32 exec_lo, exec_lo, s0
	s_wait_storecnt_dscnt 0x0
	s_barrier_signal -1
	s_barrier_wait -1
	s_and_saveexec_b32 s0, s2
	s_cbranch_execz .LBB16_211
; %bb.75:
	v_mov_b32_e32 v1, 0
	s_add_nc_u64 s[0:1], s[12:13], s[24:25]
	s_lshl_b32 s2, s28, 1
	s_mul_i32 s3, s28, 3
	s_mov_b32 s4, 0
	ds_load_b32 v11, v1 offset:260
	s_mov_b32 s5, 0x43600000
	s_add_co_i32 s6, s28, s28
	s_branch .LBB16_81
.LBB16_76:                              ;   in Loop: Header=BB16_81 Depth=1
	s_or_b32 exec_lo, exec_lo, s13
.LBB16_77:                              ;   in Loop: Header=BB16_81 Depth=1
	s_delay_alu instid0(SALU_CYCLE_1) | instskip(SKIP_3) | instid1(VALU_DEP_2)
	s_or_b32 exec_lo, exec_lo, s10
	v_lshl_add_u64 v[12:13], v[0:1], 2, s[0:1]
	v_add3_u32 v0, s6, s28, v2
	v_or_b32_e32 v2, v8, v3
	v_cmp_le_u32_e32 vcc_lo, s11, v0
	s_delay_alu instid0(VALU_DEP_2)
	v_or3_b32 v2, v2, v4, v7
	s_or_not1_b32 s10, vcc_lo, exec_lo
	global_store_b32 v[12:13], v2, off
.LBB16_78:                              ;   in Loop: Header=BB16_81 Depth=1
	s_wait_xcnt 0x0
	s_or_b32 exec_lo, exec_lo, s9
	s_delay_alu instid0(SALU_CYCLE_1)
	s_or_not1_b32 s9, s10, exec_lo
.LBB16_79:                              ;   in Loop: Header=BB16_81 Depth=1
	s_or_b32 exec_lo, exec_lo, s8
	s_delay_alu instid0(SALU_CYCLE_1)
	s_or_not1_b32 s8, s9, exec_lo
.LBB16_80:                              ;   in Loop: Header=BB16_81 Depth=1
	s_or_b32 exec_lo, exec_lo, s7
	s_delay_alu instid0(SALU_CYCLE_1) | instskip(NEXT) | instid1(SALU_CYCLE_1)
	s_and_b32 s7, exec_lo, s8
	s_or_b32 s4, s7, s4
	s_delay_alu instid0(SALU_CYCLE_1)
	s_and_not1_b32 exec_lo, exec_lo, s4
	s_cbranch_execz .LBB16_211
.LBB16_81:                              ; =>This Inner Loop Header: Depth=1
	s_clause 0x1
	global_load_b64 v[4:5], v0, s[16:17] scale_offset
	global_load_b64 v[2:3], v0, s[18:19] scale_offset
	s_mov_b32 s7, exec_lo
	s_wait_loadcnt 0x0
	v_dual_lshlrev_b32 v6, 16, v4 :: v_dual_lshlrev_b32 v8, 16, v2
	s_delay_alu instid0(VALU_DEP_1) | instskip(NEXT) | instid1(VALU_DEP_1)
	v_mul_f32_e32 v6, v10, v6
	v_bfe_u32 v7, v6, 16, 1
	v_cmp_o_f32_e32 vcc_lo, v6, v6
	s_delay_alu instid0(VALU_DEP_2) | instskip(NEXT) | instid1(VALU_DEP_1)
	v_add3_u32 v7, v6, v7, 0x7fff
	v_and_b32_e32 v7, 0xffff0000, v7
	s_delay_alu instid0(VALU_DEP_1) | instskip(NEXT) | instid1(VALU_DEP_1)
	v_cndmask_b32_e32 v6, 0x7fc00000, v7, vcc_lo
	v_mul_f32_e32 v6, v6, v8
	s_delay_alu instid0(VALU_DEP_1) | instskip(SKIP_1) | instid1(VALU_DEP_2)
	v_bfe_u32 v7, v6, 16, 1
	v_cmp_o_f32_e32 vcc_lo, v6, v6
	v_add3_u32 v7, v6, v7, 0x7fff
	s_delay_alu instid0(VALU_DEP_1) | instskip(NEXT) | instid1(VALU_DEP_1)
	v_and_b32_e32 v7, 0xffff0000, v7
	v_cndmask_b32_e32 v6, 0x7fc00000, v7, vcc_lo
	s_wait_dscnt 0x0
	s_delay_alu instid0(VALU_DEP_1) | instskip(SKIP_1) | instid1(VALU_DEP_2)
	v_div_scale_f32 v7, null, v11, v11, v6
	v_div_scale_f32 v12, vcc_lo, v6, v11, v6
	v_rcp_f32_e32 v8, v7
	v_nop
	s_delay_alu instid0(TRANS32_DEP_1) | instskip(NEXT) | instid1(VALU_DEP_1)
	v_fma_f32 v9, -v7, v8, 1.0
	v_fmac_f32_e32 v8, v9, v8
	s_delay_alu instid0(VALU_DEP_1) | instskip(NEXT) | instid1(VALU_DEP_1)
	v_mul_f32_e32 v9, v12, v8
	v_fma_f32 v13, -v7, v9, v12
	s_delay_alu instid0(VALU_DEP_1) | instskip(NEXT) | instid1(VALU_DEP_1)
	v_fmac_f32_e32 v9, v13, v8
	v_fma_f32 v7, -v7, v9, v12
	s_delay_alu instid0(VALU_DEP_1) | instskip(NEXT) | instid1(VALU_DEP_1)
	v_div_fmas_f32 v7, v7, v8, v9
	v_div_fixup_f32 v6, v7, v11, v6
	s_delay_alu instid0(VALU_DEP_1) | instskip(SKIP_1) | instid1(VALU_DEP_2)
	v_minmax_num_f32 v7, v6, s5, 0xc3600000
	v_mov_b32_e32 v6, 0x80
	v_and_b32_e32 v8, 0x7fffffff, v7
	s_wait_xcnt 0x0
	s_delay_alu instid0(VALU_DEP_1)
	v_cmpx_gt_u32_e32 0x43800000, v8
	s_cbranch_execz .LBB16_87
; %bb.82:                               ;   in Loop: Header=BB16_81 Depth=1
	v_cmp_lt_u32_e32 vcc_lo, 0x3bffffff, v8
	s_mov_b32 s8, 0
                                        ; implicit-def: $vgpr8
	s_and_saveexec_b32 s9, vcc_lo
	s_delay_alu instid0(SALU_CYCLE_1)
	s_xor_b32 s9, exec_lo, s9
	s_cbranch_execnz .LBB16_178
; %bb.83:                               ;   in Loop: Header=BB16_81 Depth=1
	s_and_not1_saveexec_b32 s9, s9
	s_cbranch_execnz .LBB16_179
.LBB16_84:                              ;   in Loop: Header=BB16_81 Depth=1
	s_or_b32 exec_lo, exec_lo, s9
	v_mov_b32_e32 v6, 0
	s_and_saveexec_b32 s9, s8
.LBB16_85:                              ;   in Loop: Header=BB16_81 Depth=1
	v_lshrrev_b32_e32 v6, 24, v7
	s_delay_alu instid0(VALU_DEP_1)
	v_and_or_b32 v6, 0x80, v6, v8
.LBB16_86:                              ;   in Loop: Header=BB16_81 Depth=1
	s_or_b32 exec_lo, exec_lo, s9
.LBB16_87:                              ;   in Loop: Header=BB16_81 Depth=1
	s_delay_alu instid0(SALU_CYCLE_1) | instskip(SKIP_3) | instid1(VALU_DEP_2)
	s_or_b32 exec_lo, exec_lo, s7
	v_and_b32_e32 v7, 0xffff0000, v4
	v_and_b32_e32 v9, 0xffff0000, v2
	s_mov_b32 s7, exec_lo
	v_mul_f32_e32 v7, v10, v7
	s_delay_alu instid0(VALU_DEP_1) | instskip(SKIP_1) | instid1(VALU_DEP_2)
	v_bfe_u32 v8, v7, 16, 1
	v_cmp_o_f32_e32 vcc_lo, v7, v7
	v_add3_u32 v8, v7, v8, 0x7fff
	s_delay_alu instid0(VALU_DEP_1) | instskip(NEXT) | instid1(VALU_DEP_1)
	v_and_b32_e32 v8, 0xffff0000, v8
	v_cndmask_b32_e32 v7, 0x7fc00000, v8, vcc_lo
	s_delay_alu instid0(VALU_DEP_1) | instskip(NEXT) | instid1(VALU_DEP_1)
	v_mul_f32_e32 v7, v7, v9
	v_bfe_u32 v8, v7, 16, 1
	v_cmp_o_f32_e32 vcc_lo, v7, v7
	s_delay_alu instid0(VALU_DEP_2) | instskip(NEXT) | instid1(VALU_DEP_1)
	v_add3_u32 v8, v7, v8, 0x7fff
	v_and_b32_e32 v8, 0xffff0000, v8
	s_delay_alu instid0(VALU_DEP_1) | instskip(NEXT) | instid1(VALU_DEP_1)
	v_cndmask_b32_e32 v7, 0x7fc00000, v8, vcc_lo
	v_div_scale_f32 v8, null, v11, v11, v7
	v_div_scale_f32 v13, vcc_lo, v7, v11, v7
	s_delay_alu instid0(VALU_DEP_2) | instskip(SKIP_1) | instid1(TRANS32_DEP_1)
	v_rcp_f32_e32 v9, v8
	v_nop
	v_fma_f32 v12, -v8, v9, 1.0
	s_delay_alu instid0(VALU_DEP_1) | instskip(NEXT) | instid1(VALU_DEP_1)
	v_fmac_f32_e32 v9, v12, v9
	v_mul_f32_e32 v12, v13, v9
	s_delay_alu instid0(VALU_DEP_1) | instskip(NEXT) | instid1(VALU_DEP_1)
	v_fma_f32 v14, -v8, v12, v13
	v_fmac_f32_e32 v12, v14, v9
	s_delay_alu instid0(VALU_DEP_1) | instskip(NEXT) | instid1(VALU_DEP_1)
	v_fma_f32 v8, -v8, v12, v13
	v_div_fmas_f32 v8, v8, v9, v12
	s_delay_alu instid0(VALU_DEP_1) | instskip(NEXT) | instid1(VALU_DEP_1)
	v_div_fixup_f32 v7, v8, v11, v7
	v_minmax_num_f32 v8, v7, s5, 0xc3600000
	v_mov_b32_e32 v7, 0x8000
	s_delay_alu instid0(VALU_DEP_2) | instskip(NEXT) | instid1(VALU_DEP_1)
	v_and_b32_e32 v9, 0x7fffffff, v8
	v_cmpx_gt_u32_e32 0x43800000, v9
	s_cbranch_execz .LBB16_93
; %bb.88:                               ;   in Loop: Header=BB16_81 Depth=1
	v_cmp_lt_u32_e32 vcc_lo, 0x3bffffff, v9
	s_mov_b32 s8, 0
                                        ; implicit-def: $vgpr9
	s_and_saveexec_b32 s9, vcc_lo
	s_delay_alu instid0(SALU_CYCLE_1)
	s_xor_b32 s9, exec_lo, s9
	s_cbranch_execnz .LBB16_180
; %bb.89:                               ;   in Loop: Header=BB16_81 Depth=1
	s_and_not1_saveexec_b32 s9, s9
	s_cbranch_execnz .LBB16_181
.LBB16_90:                              ;   in Loop: Header=BB16_81 Depth=1
	s_or_b32 exec_lo, exec_lo, s9
	v_mov_b32_e32 v7, 0
	s_and_saveexec_b32 s9, s8
.LBB16_91:                              ;   in Loop: Header=BB16_81 Depth=1
	v_lshrrev_b32_e32 v7, 24, v8
	s_delay_alu instid0(VALU_DEP_1) | instskip(NEXT) | instid1(VALU_DEP_1)
	v_and_or_b32 v7, 0x80, v7, v9
	v_lshlrev_b32_e32 v7, 8, v7
.LBB16_92:                              ;   in Loop: Header=BB16_81 Depth=1
	s_or_b32 exec_lo, exec_lo, s9
.LBB16_93:                              ;   in Loop: Header=BB16_81 Depth=1
	s_delay_alu instid0(SALU_CYCLE_1) | instskip(SKIP_3) | instid1(VALU_DEP_2)
	s_or_b32 exec_lo, exec_lo, s7
	v_alignbit_b32 v4, v5, v4, 16
	v_alignbit_b32 v2, v3, v2, 16
	s_mov_b32 s7, exec_lo
	v_and_b32_e32 v4, 0xffff0000, v4
	s_delay_alu instid0(VALU_DEP_2) | instskip(NEXT) | instid1(VALU_DEP_2)
	v_and_b32_e32 v2, 0xffff0000, v2
	v_mul_f32_e32 v4, v10, v4
	s_delay_alu instid0(VALU_DEP_1) | instskip(SKIP_1) | instid1(VALU_DEP_2)
	v_bfe_u32 v8, v4, 16, 1
	v_cmp_o_f32_e32 vcc_lo, v4, v4
	v_add3_u32 v8, v4, v8, 0x7fff
	s_delay_alu instid0(VALU_DEP_1) | instskip(NEXT) | instid1(VALU_DEP_1)
	v_and_b32_e32 v8, 0xffff0000, v8
	v_cndmask_b32_e32 v4, 0x7fc00000, v8, vcc_lo
	s_delay_alu instid0(VALU_DEP_1) | instskip(NEXT) | instid1(VALU_DEP_1)
	v_mul_f32_e32 v2, v4, v2
	v_bfe_u32 v4, v2, 16, 1
	v_cmp_o_f32_e32 vcc_lo, v2, v2
	s_delay_alu instid0(VALU_DEP_2) | instskip(NEXT) | instid1(VALU_DEP_1)
	v_add3_u32 v4, v2, v4, 0x7fff
	v_and_b32_e32 v4, 0xffff0000, v4
	s_delay_alu instid0(VALU_DEP_1) | instskip(NEXT) | instid1(VALU_DEP_1)
	v_cndmask_b32_e32 v2, 0x7fc00000, v4, vcc_lo
	v_div_scale_f32 v4, null, v11, v11, v2
	v_div_scale_f32 v12, vcc_lo, v2, v11, v2
	s_delay_alu instid0(VALU_DEP_2) | instskip(SKIP_1) | instid1(TRANS32_DEP_1)
	v_rcp_f32_e32 v8, v4
	v_nop
	v_fma_f32 v9, -v4, v8, 1.0
	s_delay_alu instid0(VALU_DEP_1) | instskip(NEXT) | instid1(VALU_DEP_1)
	v_fmac_f32_e32 v8, v9, v8
	v_mul_f32_e32 v9, v12, v8
	s_delay_alu instid0(VALU_DEP_1) | instskip(NEXT) | instid1(VALU_DEP_1)
	v_fma_f32 v13, -v4, v9, v12
	v_fmac_f32_e32 v9, v13, v8
	s_delay_alu instid0(VALU_DEP_1) | instskip(NEXT) | instid1(VALU_DEP_1)
	v_fma_f32 v4, -v4, v9, v12
	v_div_fmas_f32 v4, v4, v8, v9
	s_delay_alu instid0(VALU_DEP_1) | instskip(SKIP_1) | instid1(VALU_DEP_2)
	v_div_fixup_f32 v2, v4, v11, v2
	v_mov_b32_e32 v4, 0x800000
	v_minmax_num_f32 v2, v2, s5, 0xc3600000
	s_delay_alu instid0(VALU_DEP_1) | instskip(NEXT) | instid1(VALU_DEP_1)
	v_and_b32_e32 v8, 0x7fffffff, v2
	v_cmpx_gt_u32_e32 0x43800000, v8
	s_cbranch_execz .LBB16_99
; %bb.94:                               ;   in Loop: Header=BB16_81 Depth=1
	v_cmp_lt_u32_e32 vcc_lo, 0x3bffffff, v8
	s_mov_b32 s8, 0
                                        ; implicit-def: $vgpr8
	s_and_saveexec_b32 s9, vcc_lo
	s_delay_alu instid0(SALU_CYCLE_1)
	s_xor_b32 s9, exec_lo, s9
	s_cbranch_execnz .LBB16_182
; %bb.95:                               ;   in Loop: Header=BB16_81 Depth=1
	s_and_not1_saveexec_b32 s9, s9
	s_cbranch_execnz .LBB16_183
.LBB16_96:                              ;   in Loop: Header=BB16_81 Depth=1
	s_or_b32 exec_lo, exec_lo, s9
	v_mov_b32_e32 v4, 0
	s_and_saveexec_b32 s9, s8
.LBB16_97:                              ;   in Loop: Header=BB16_81 Depth=1
	v_lshrrev_b32_e32 v2, 24, v2
	s_delay_alu instid0(VALU_DEP_1) | instskip(NEXT) | instid1(VALU_DEP_1)
	v_and_or_b32 v2, 0x80, v2, v8
	v_lshlrev_b32_e32 v4, 16, v2
.LBB16_98:                              ;   in Loop: Header=BB16_81 Depth=1
	s_or_b32 exec_lo, exec_lo, s9
.LBB16_99:                              ;   in Loop: Header=BB16_81 Depth=1
	s_delay_alu instid0(SALU_CYCLE_1) | instskip(SKIP_3) | instid1(VALU_DEP_2)
	s_or_b32 exec_lo, exec_lo, s7
	v_and_b32_e32 v2, 0xffff0000, v5
	v_and_b32_e32 v3, 0xffff0000, v3
	s_mov_b32 s7, exec_lo
	v_mul_f32_e32 v2, v10, v2
	s_delay_alu instid0(VALU_DEP_1) | instskip(SKIP_1) | instid1(VALU_DEP_2)
	v_bfe_u32 v5, v2, 16, 1
	v_cmp_o_f32_e32 vcc_lo, v2, v2
	v_add3_u32 v5, v2, v5, 0x7fff
	s_delay_alu instid0(VALU_DEP_1) | instskip(NEXT) | instid1(VALU_DEP_1)
	v_and_b32_e32 v5, 0xffff0000, v5
	v_cndmask_b32_e32 v2, 0x7fc00000, v5, vcc_lo
	s_delay_alu instid0(VALU_DEP_1) | instskip(NEXT) | instid1(VALU_DEP_1)
	v_mul_f32_e32 v2, v2, v3
	v_bfe_u32 v3, v2, 16, 1
	v_cmp_o_f32_e32 vcc_lo, v2, v2
	s_delay_alu instid0(VALU_DEP_2) | instskip(NEXT) | instid1(VALU_DEP_1)
	v_add3_u32 v3, v2, v3, 0x7fff
	v_and_b32_e32 v3, 0xffff0000, v3
	s_delay_alu instid0(VALU_DEP_1) | instskip(NEXT) | instid1(VALU_DEP_1)
	v_cndmask_b32_e32 v2, 0x7fc00000, v3, vcc_lo
	v_div_scale_f32 v3, null, v11, v11, v2
	v_div_scale_f32 v9, vcc_lo, v2, v11, v2
	s_delay_alu instid0(VALU_DEP_2) | instskip(SKIP_1) | instid1(TRANS32_DEP_1)
	v_rcp_f32_e32 v5, v3
	v_nop
	v_fma_f32 v8, -v3, v5, 1.0
	s_delay_alu instid0(VALU_DEP_1) | instskip(NEXT) | instid1(VALU_DEP_1)
	v_fmac_f32_e32 v5, v8, v5
	v_mul_f32_e32 v8, v9, v5
	s_delay_alu instid0(VALU_DEP_1) | instskip(NEXT) | instid1(VALU_DEP_1)
	v_fma_f32 v12, -v3, v8, v9
	v_fmac_f32_e32 v8, v12, v5
	s_delay_alu instid0(VALU_DEP_1) | instskip(NEXT) | instid1(VALU_DEP_1)
	v_fma_f32 v3, -v3, v8, v9
	v_div_fmas_f32 v3, v3, v5, v8
	v_bfrev_b32_e32 v5, 1
	s_delay_alu instid0(VALU_DEP_2) | instskip(NEXT) | instid1(VALU_DEP_1)
	v_div_fixup_f32 v2, v3, v11, v2
	v_minmax_num_f32 v2, v2, s5, 0xc3600000
	s_delay_alu instid0(VALU_DEP_1) | instskip(NEXT) | instid1(VALU_DEP_1)
	v_and_b32_e32 v3, 0x7fffffff, v2
	v_cmpx_gt_u32_e32 0x43800000, v3
	s_cbranch_execz .LBB16_105
; %bb.100:                              ;   in Loop: Header=BB16_81 Depth=1
	v_cmp_lt_u32_e32 vcc_lo, 0x3bffffff, v3
	s_mov_b32 s8, 0
                                        ; implicit-def: $vgpr3
	s_and_saveexec_b32 s9, vcc_lo
	s_delay_alu instid0(SALU_CYCLE_1)
	s_xor_b32 s9, exec_lo, s9
	s_cbranch_execnz .LBB16_184
; %bb.101:                              ;   in Loop: Header=BB16_81 Depth=1
	s_and_not1_saveexec_b32 s9, s9
	s_cbranch_execnz .LBB16_185
.LBB16_102:                             ;   in Loop: Header=BB16_81 Depth=1
	s_or_b32 exec_lo, exec_lo, s9
	v_mov_b32_e32 v5, 0
	s_and_saveexec_b32 s9, s8
.LBB16_103:                             ;   in Loop: Header=BB16_81 Depth=1
	v_and_b32_e32 v2, 0x80000000, v2
	s_delay_alu instid0(VALU_DEP_1)
	v_lshl_or_b32 v5, v3, 24, v2
.LBB16_104:                             ;   in Loop: Header=BB16_81 Depth=1
	s_or_b32 exec_lo, exec_lo, s9
.LBB16_105:                             ;   in Loop: Header=BB16_81 Depth=1
	s_delay_alu instid0(SALU_CYCLE_1) | instskip(SKIP_4) | instid1(VALU_DEP_2)
	s_or_b32 exec_lo, exec_lo, s7
	v_dual_add_nc_u32 v2, s28, v0 :: v_dual_bitop2_b32 v3, v7, v6 bitop3:0x54
	v_lshl_add_u64 v[6:7], v[0:1], 2, s[0:1]
	s_mov_b32 s8, -1
	s_mov_b32 s7, exec_lo
	v_or3_b32 v3, v3, v4, v5
	global_store_b32 v[6:7], v3, off
	s_wait_xcnt 0x0
	v_cmpx_gt_u32_e64 s11, v2
	s_cbranch_execz .LBB16_80
; %bb.106:                              ;   in Loop: Header=BB16_81 Depth=1
	s_clause 0x1
	global_load_b64 v[6:7], v2, s[16:17] scale_offset
	global_load_b64 v[4:5], v2, s[18:19] scale_offset
	s_mov_b32 s8, exec_lo
	s_wait_loadcnt 0x0
	v_dual_lshlrev_b32 v3, 16, v6 :: v_dual_lshlrev_b32 v9, 16, v4
	s_delay_alu instid0(VALU_DEP_1) | instskip(NEXT) | instid1(VALU_DEP_1)
	v_mul_f32_e32 v3, v10, v3
	v_bfe_u32 v8, v3, 16, 1
	v_cmp_o_f32_e32 vcc_lo, v3, v3
	s_delay_alu instid0(VALU_DEP_2) | instskip(NEXT) | instid1(VALU_DEP_1)
	v_add3_u32 v8, v3, v8, 0x7fff
	v_and_b32_e32 v8, 0xffff0000, v8
	s_delay_alu instid0(VALU_DEP_1) | instskip(NEXT) | instid1(VALU_DEP_1)
	v_cndmask_b32_e32 v3, 0x7fc00000, v8, vcc_lo
	v_mul_f32_e32 v3, v3, v9
	s_delay_alu instid0(VALU_DEP_1) | instskip(SKIP_1) | instid1(VALU_DEP_2)
	v_bfe_u32 v8, v3, 16, 1
	v_cmp_o_f32_e32 vcc_lo, v3, v3
	v_add3_u32 v8, v3, v8, 0x7fff
	s_delay_alu instid0(VALU_DEP_1) | instskip(NEXT) | instid1(VALU_DEP_1)
	v_and_b32_e32 v8, 0xffff0000, v8
	v_cndmask_b32_e32 v3, 0x7fc00000, v8, vcc_lo
	s_delay_alu instid0(VALU_DEP_1) | instskip(SKIP_1) | instid1(VALU_DEP_2)
	v_div_scale_f32 v8, null, v11, v11, v3
	v_div_scale_f32 v13, vcc_lo, v3, v11, v3
	v_rcp_f32_e32 v9, v8
	v_nop
	s_delay_alu instid0(TRANS32_DEP_1) | instskip(NEXT) | instid1(VALU_DEP_1)
	v_fma_f32 v12, -v8, v9, 1.0
	v_fmac_f32_e32 v9, v12, v9
	s_delay_alu instid0(VALU_DEP_1) | instskip(NEXT) | instid1(VALU_DEP_1)
	v_mul_f32_e32 v12, v13, v9
	v_fma_f32 v14, -v8, v12, v13
	s_delay_alu instid0(VALU_DEP_1) | instskip(NEXT) | instid1(VALU_DEP_1)
	v_fmac_f32_e32 v12, v14, v9
	v_fma_f32 v8, -v8, v12, v13
	s_delay_alu instid0(VALU_DEP_1) | instskip(NEXT) | instid1(VALU_DEP_1)
	v_div_fmas_f32 v8, v8, v9, v12
	v_div_fixup_f32 v3, v8, v11, v3
	v_mov_b32_e32 v8, 0x80
	s_delay_alu instid0(VALU_DEP_2) | instskip(NEXT) | instid1(VALU_DEP_1)
	v_minmax_num_f32 v3, v3, s5, 0xc3600000
	v_and_b32_e32 v9, 0x7fffffff, v3
	s_wait_xcnt 0x0
	s_delay_alu instid0(VALU_DEP_1)
	v_cmpx_gt_u32_e32 0x43800000, v9
	s_cbranch_execz .LBB16_112
; %bb.107:                              ;   in Loop: Header=BB16_81 Depth=1
	v_cmp_lt_u32_e32 vcc_lo, 0x3bffffff, v9
	s_mov_b32 s9, 0
                                        ; implicit-def: $vgpr9
	s_and_saveexec_b32 s10, vcc_lo
	s_delay_alu instid0(SALU_CYCLE_1)
	s_xor_b32 s10, exec_lo, s10
	s_cbranch_execnz .LBB16_186
; %bb.108:                              ;   in Loop: Header=BB16_81 Depth=1
	s_and_not1_saveexec_b32 s10, s10
	s_cbranch_execnz .LBB16_187
.LBB16_109:                             ;   in Loop: Header=BB16_81 Depth=1
	s_or_b32 exec_lo, exec_lo, s10
	v_mov_b32_e32 v8, 0
	s_and_saveexec_b32 s10, s9
.LBB16_110:                             ;   in Loop: Header=BB16_81 Depth=1
	v_lshrrev_b32_e32 v3, 24, v3
	s_delay_alu instid0(VALU_DEP_1)
	v_and_or_b32 v8, 0x80, v3, v9
.LBB16_111:                             ;   in Loop: Header=BB16_81 Depth=1
	s_or_b32 exec_lo, exec_lo, s10
.LBB16_112:                             ;   in Loop: Header=BB16_81 Depth=1
	s_delay_alu instid0(SALU_CYCLE_1) | instskip(SKIP_3) | instid1(VALU_DEP_2)
	s_or_b32 exec_lo, exec_lo, s8
	v_and_b32_e32 v3, 0xffff0000, v6
	v_and_b32_e32 v12, 0xffff0000, v4
	s_mov_b32 s8, exec_lo
	v_mul_f32_e32 v3, v10, v3
	s_delay_alu instid0(VALU_DEP_1) | instskip(SKIP_1) | instid1(VALU_DEP_2)
	v_bfe_u32 v9, v3, 16, 1
	v_cmp_o_f32_e32 vcc_lo, v3, v3
	v_add3_u32 v9, v3, v9, 0x7fff
	s_delay_alu instid0(VALU_DEP_1) | instskip(NEXT) | instid1(VALU_DEP_1)
	v_and_b32_e32 v9, 0xffff0000, v9
	v_cndmask_b32_e32 v3, 0x7fc00000, v9, vcc_lo
	s_delay_alu instid0(VALU_DEP_1) | instskip(NEXT) | instid1(VALU_DEP_1)
	v_mul_f32_e32 v3, v3, v12
	v_bfe_u32 v9, v3, 16, 1
	v_cmp_o_f32_e32 vcc_lo, v3, v3
	s_delay_alu instid0(VALU_DEP_2) | instskip(NEXT) | instid1(VALU_DEP_1)
	v_add3_u32 v9, v3, v9, 0x7fff
	v_and_b32_e32 v9, 0xffff0000, v9
	s_delay_alu instid0(VALU_DEP_1) | instskip(NEXT) | instid1(VALU_DEP_1)
	v_cndmask_b32_e32 v3, 0x7fc00000, v9, vcc_lo
	v_div_scale_f32 v9, null, v11, v11, v3
	v_div_scale_f32 v14, vcc_lo, v3, v11, v3
	s_delay_alu instid0(VALU_DEP_2) | instskip(SKIP_1) | instid1(TRANS32_DEP_1)
	v_rcp_f32_e32 v12, v9
	v_nop
	v_fma_f32 v13, -v9, v12, 1.0
	s_delay_alu instid0(VALU_DEP_1) | instskip(NEXT) | instid1(VALU_DEP_1)
	v_fmac_f32_e32 v12, v13, v12
	v_mul_f32_e32 v13, v14, v12
	s_delay_alu instid0(VALU_DEP_1) | instskip(NEXT) | instid1(VALU_DEP_1)
	v_fma_f32 v15, -v9, v13, v14
	v_fmac_f32_e32 v13, v15, v12
	s_delay_alu instid0(VALU_DEP_1) | instskip(NEXT) | instid1(VALU_DEP_1)
	v_fma_f32 v9, -v9, v13, v14
	v_div_fmas_f32 v9, v9, v12, v13
	s_delay_alu instid0(VALU_DEP_1) | instskip(SKIP_1) | instid1(VALU_DEP_2)
	v_div_fixup_f32 v3, v9, v11, v3
	v_mov_b32_e32 v9, 0x8000
	v_minmax_num_f32 v3, v3, s5, 0xc3600000
	s_delay_alu instid0(VALU_DEP_1) | instskip(NEXT) | instid1(VALU_DEP_1)
	v_and_b32_e32 v12, 0x7fffffff, v3
	v_cmpx_gt_u32_e32 0x43800000, v12
	s_cbranch_execz .LBB16_118
; %bb.113:                              ;   in Loop: Header=BB16_81 Depth=1
	v_cmp_lt_u32_e32 vcc_lo, 0x3bffffff, v12
	s_mov_b32 s9, 0
                                        ; implicit-def: $vgpr12
	s_and_saveexec_b32 s10, vcc_lo
	s_delay_alu instid0(SALU_CYCLE_1)
	s_xor_b32 s10, exec_lo, s10
	s_cbranch_execnz .LBB16_188
; %bb.114:                              ;   in Loop: Header=BB16_81 Depth=1
	s_and_not1_saveexec_b32 s10, s10
	s_cbranch_execnz .LBB16_189
.LBB16_115:                             ;   in Loop: Header=BB16_81 Depth=1
	s_or_b32 exec_lo, exec_lo, s10
	v_mov_b32_e32 v9, 0
	s_and_saveexec_b32 s10, s9
.LBB16_116:                             ;   in Loop: Header=BB16_81 Depth=1
	v_lshrrev_b32_e32 v3, 24, v3
	s_delay_alu instid0(VALU_DEP_1) | instskip(NEXT) | instid1(VALU_DEP_1)
	v_and_or_b32 v3, 0x80, v3, v12
	v_lshlrev_b32_e32 v9, 8, v3
.LBB16_117:                             ;   in Loop: Header=BB16_81 Depth=1
	s_or_b32 exec_lo, exec_lo, s10
.LBB16_118:                             ;   in Loop: Header=BB16_81 Depth=1
	s_delay_alu instid0(SALU_CYCLE_1) | instskip(SKIP_3) | instid1(VALU_DEP_2)
	s_or_b32 exec_lo, exec_lo, s8
	v_alignbit_b32 v3, v7, v6, 16
	v_alignbit_b32 v4, v5, v4, 16
	s_mov_b32 s8, exec_lo
	v_and_b32_e32 v3, 0xffff0000, v3
	s_delay_alu instid0(VALU_DEP_2) | instskip(NEXT) | instid1(VALU_DEP_2)
	v_and_b32_e32 v4, 0xffff0000, v4
	v_mul_f32_e32 v3, v10, v3
	s_delay_alu instid0(VALU_DEP_1) | instskip(SKIP_1) | instid1(VALU_DEP_2)
	v_bfe_u32 v6, v3, 16, 1
	v_cmp_o_f32_e32 vcc_lo, v3, v3
	v_add3_u32 v6, v3, v6, 0x7fff
	s_delay_alu instid0(VALU_DEP_1) | instskip(NEXT) | instid1(VALU_DEP_1)
	v_and_b32_e32 v6, 0xffff0000, v6
	v_cndmask_b32_e32 v3, 0x7fc00000, v6, vcc_lo
	s_delay_alu instid0(VALU_DEP_1) | instskip(NEXT) | instid1(VALU_DEP_1)
	v_mul_f32_e32 v3, v3, v4
	v_bfe_u32 v4, v3, 16, 1
	v_cmp_o_f32_e32 vcc_lo, v3, v3
	s_delay_alu instid0(VALU_DEP_2) | instskip(NEXT) | instid1(VALU_DEP_1)
	v_add3_u32 v4, v3, v4, 0x7fff
	v_and_b32_e32 v4, 0xffff0000, v4
	s_delay_alu instid0(VALU_DEP_1) | instskip(NEXT) | instid1(VALU_DEP_1)
	v_cndmask_b32_e32 v3, 0x7fc00000, v4, vcc_lo
	v_div_scale_f32 v4, null, v11, v11, v3
	v_div_scale_f32 v13, vcc_lo, v3, v11, v3
	s_delay_alu instid0(VALU_DEP_2) | instskip(SKIP_1) | instid1(TRANS32_DEP_1)
	v_rcp_f32_e32 v6, v4
	v_nop
	v_fma_f32 v12, -v4, v6, 1.0
	s_delay_alu instid0(VALU_DEP_1) | instskip(NEXT) | instid1(VALU_DEP_1)
	v_fmac_f32_e32 v6, v12, v6
	v_mul_f32_e32 v12, v13, v6
	s_delay_alu instid0(VALU_DEP_1) | instskip(NEXT) | instid1(VALU_DEP_1)
	v_fma_f32 v14, -v4, v12, v13
	v_fmac_f32_e32 v12, v14, v6
	s_delay_alu instid0(VALU_DEP_1) | instskip(NEXT) | instid1(VALU_DEP_1)
	v_fma_f32 v4, -v4, v12, v13
	v_div_fmas_f32 v4, v4, v6, v12
	v_mov_b32_e32 v6, 0x800000
	s_delay_alu instid0(VALU_DEP_2) | instskip(NEXT) | instid1(VALU_DEP_1)
	v_div_fixup_f32 v3, v4, v11, v3
	v_minmax_num_f32 v3, v3, s5, 0xc3600000
	s_delay_alu instid0(VALU_DEP_1) | instskip(NEXT) | instid1(VALU_DEP_1)
	v_and_b32_e32 v4, 0x7fffffff, v3
	v_cmpx_gt_u32_e32 0x43800000, v4
	s_cbranch_execz .LBB16_124
; %bb.119:                              ;   in Loop: Header=BB16_81 Depth=1
	v_cmp_lt_u32_e32 vcc_lo, 0x3bffffff, v4
	s_mov_b32 s9, 0
                                        ; implicit-def: $vgpr4
	s_and_saveexec_b32 s10, vcc_lo
	s_delay_alu instid0(SALU_CYCLE_1)
	s_xor_b32 s10, exec_lo, s10
	s_cbranch_execnz .LBB16_190
; %bb.120:                              ;   in Loop: Header=BB16_81 Depth=1
	s_and_not1_saveexec_b32 s10, s10
	s_cbranch_execnz .LBB16_191
.LBB16_121:                             ;   in Loop: Header=BB16_81 Depth=1
	s_or_b32 exec_lo, exec_lo, s10
	v_mov_b32_e32 v6, 0
	s_and_saveexec_b32 s10, s9
.LBB16_122:                             ;   in Loop: Header=BB16_81 Depth=1
	v_lshrrev_b32_e32 v3, 24, v3
	s_delay_alu instid0(VALU_DEP_1) | instskip(NEXT) | instid1(VALU_DEP_1)
	v_and_or_b32 v3, 0x80, v3, v4
	v_lshlrev_b32_e32 v6, 16, v3
.LBB16_123:                             ;   in Loop: Header=BB16_81 Depth=1
	s_or_b32 exec_lo, exec_lo, s10
.LBB16_124:                             ;   in Loop: Header=BB16_81 Depth=1
	s_delay_alu instid0(SALU_CYCLE_1) | instskip(SKIP_3) | instid1(VALU_DEP_2)
	s_or_b32 exec_lo, exec_lo, s8
	v_and_b32_e32 v3, 0xffff0000, v7
	v_and_b32_e32 v5, 0xffff0000, v5
	s_mov_b32 s8, exec_lo
	v_mul_f32_e32 v3, v10, v3
	s_delay_alu instid0(VALU_DEP_1) | instskip(SKIP_1) | instid1(VALU_DEP_2)
	v_bfe_u32 v4, v3, 16, 1
	v_cmp_o_f32_e32 vcc_lo, v3, v3
	v_add3_u32 v4, v3, v4, 0x7fff
	s_delay_alu instid0(VALU_DEP_1) | instskip(NEXT) | instid1(VALU_DEP_1)
	v_and_b32_e32 v4, 0xffff0000, v4
	v_cndmask_b32_e32 v3, 0x7fc00000, v4, vcc_lo
	s_delay_alu instid0(VALU_DEP_1) | instskip(NEXT) | instid1(VALU_DEP_1)
	v_mul_f32_e32 v3, v3, v5
	v_bfe_u32 v4, v3, 16, 1
	v_cmp_o_f32_e32 vcc_lo, v3, v3
	s_delay_alu instid0(VALU_DEP_2) | instskip(NEXT) | instid1(VALU_DEP_1)
	v_add3_u32 v4, v3, v4, 0x7fff
	v_and_b32_e32 v4, 0xffff0000, v4
	s_delay_alu instid0(VALU_DEP_1) | instskip(NEXT) | instid1(VALU_DEP_1)
	v_cndmask_b32_e32 v3, 0x7fc00000, v4, vcc_lo
	v_div_scale_f32 v4, null, v11, v11, v3
	v_div_scale_f32 v12, vcc_lo, v3, v11, v3
	s_delay_alu instid0(VALU_DEP_2) | instskip(SKIP_1) | instid1(TRANS32_DEP_1)
	v_rcp_f32_e32 v5, v4
	v_nop
	v_fma_f32 v7, -v4, v5, 1.0
	s_delay_alu instid0(VALU_DEP_1) | instskip(NEXT) | instid1(VALU_DEP_1)
	v_fmac_f32_e32 v5, v7, v5
	v_mul_f32_e32 v7, v12, v5
	s_delay_alu instid0(VALU_DEP_1) | instskip(NEXT) | instid1(VALU_DEP_1)
	v_fma_f32 v13, -v4, v7, v12
	v_fmac_f32_e32 v7, v13, v5
	s_delay_alu instid0(VALU_DEP_1) | instskip(NEXT) | instid1(VALU_DEP_1)
	v_fma_f32 v4, -v4, v7, v12
	v_div_fmas_f32 v4, v4, v5, v7
	v_bfrev_b32_e32 v5, 1
	s_delay_alu instid0(VALU_DEP_2) | instskip(NEXT) | instid1(VALU_DEP_1)
	v_div_fixup_f32 v3, v4, v11, v3
	v_minmax_num_f32 v3, v3, s5, 0xc3600000
	s_delay_alu instid0(VALU_DEP_1) | instskip(NEXT) | instid1(VALU_DEP_1)
	v_and_b32_e32 v4, 0x7fffffff, v3
	v_cmpx_gt_u32_e32 0x43800000, v4
	s_cbranch_execz .LBB16_130
; %bb.125:                              ;   in Loop: Header=BB16_81 Depth=1
	v_cmp_lt_u32_e32 vcc_lo, 0x3bffffff, v4
	s_mov_b32 s9, 0
                                        ; implicit-def: $vgpr4
	s_and_saveexec_b32 s10, vcc_lo
	s_delay_alu instid0(SALU_CYCLE_1)
	s_xor_b32 s10, exec_lo, s10
	s_cbranch_execnz .LBB16_192
; %bb.126:                              ;   in Loop: Header=BB16_81 Depth=1
	s_and_not1_saveexec_b32 s10, s10
	s_cbranch_execnz .LBB16_193
.LBB16_127:                             ;   in Loop: Header=BB16_81 Depth=1
	s_or_b32 exec_lo, exec_lo, s10
	v_mov_b32_e32 v5, 0
	s_and_saveexec_b32 s10, s9
.LBB16_128:                             ;   in Loop: Header=BB16_81 Depth=1
	v_and_b32_e32 v3, 0x80000000, v3
	s_delay_alu instid0(VALU_DEP_1)
	v_lshl_or_b32 v5, v4, 24, v3
.LBB16_129:                             ;   in Loop: Header=BB16_81 Depth=1
	s_or_b32 exec_lo, exec_lo, s10
.LBB16_130:                             ;   in Loop: Header=BB16_81 Depth=1
	s_delay_alu instid0(SALU_CYCLE_1) | instskip(SKIP_4) | instid1(VALU_DEP_2)
	s_or_b32 exec_lo, exec_lo, s8
	v_dual_mov_b32 v3, v1 :: v_dual_add_nc_u32 v4, s2, v0
	v_or_b32_e32 v7, v9, v8
	s_mov_b32 s9, -1
	s_mov_b32 s8, exec_lo
	v_lshl_add_u64 v[8:9], v[2:3], 2, s[0:1]
	s_delay_alu instid0(VALU_DEP_2)
	v_or3_b32 v3, v7, v6, v5
	global_store_b32 v[8:9], v3, off
	s_wait_xcnt 0x0
	v_cmpx_gt_u32_e64 s11, v4
	s_cbranch_execz .LBB16_79
; %bb.131:                              ;   in Loop: Header=BB16_81 Depth=1
	s_clause 0x1
	global_load_b64 v[8:9], v4, s[16:17] scale_offset
	global_load_b64 v[6:7], v4, s[18:19] scale_offset
	s_mov_b32 s9, exec_lo
	s_wait_loadcnt 0x0
	v_dual_lshlrev_b32 v3, 16, v8 :: v_dual_lshlrev_b32 v12, 16, v6
	s_delay_alu instid0(VALU_DEP_1) | instskip(NEXT) | instid1(VALU_DEP_1)
	v_mul_f32_e32 v3, v10, v3
	v_bfe_u32 v5, v3, 16, 1
	v_cmp_o_f32_e32 vcc_lo, v3, v3
	s_delay_alu instid0(VALU_DEP_2) | instskip(NEXT) | instid1(VALU_DEP_1)
	v_add3_u32 v5, v3, v5, 0x7fff
	v_and_b32_e32 v5, 0xffff0000, v5
	s_delay_alu instid0(VALU_DEP_1) | instskip(NEXT) | instid1(VALU_DEP_1)
	v_cndmask_b32_e32 v3, 0x7fc00000, v5, vcc_lo
	v_mul_f32_e32 v3, v3, v12
	s_delay_alu instid0(VALU_DEP_1) | instskip(SKIP_1) | instid1(VALU_DEP_2)
	v_bfe_u32 v5, v3, 16, 1
	v_cmp_o_f32_e32 vcc_lo, v3, v3
	v_add3_u32 v5, v3, v5, 0x7fff
	s_delay_alu instid0(VALU_DEP_1) | instskip(NEXT) | instid1(VALU_DEP_1)
	v_and_b32_e32 v5, 0xffff0000, v5
	v_cndmask_b32_e32 v3, 0x7fc00000, v5, vcc_lo
	s_delay_alu instid0(VALU_DEP_1) | instskip(SKIP_1) | instid1(VALU_DEP_2)
	v_div_scale_f32 v5, null, v11, v11, v3
	v_div_scale_f32 v14, vcc_lo, v3, v11, v3
	v_rcp_f32_e32 v12, v5
	v_nop
	s_delay_alu instid0(TRANS32_DEP_1) | instskip(NEXT) | instid1(VALU_DEP_1)
	v_fma_f32 v13, -v5, v12, 1.0
	v_fmac_f32_e32 v12, v13, v12
	s_delay_alu instid0(VALU_DEP_1) | instskip(NEXT) | instid1(VALU_DEP_1)
	v_mul_f32_e32 v13, v14, v12
	v_fma_f32 v15, -v5, v13, v14
	s_delay_alu instid0(VALU_DEP_1) | instskip(NEXT) | instid1(VALU_DEP_1)
	v_fmac_f32_e32 v13, v15, v12
	v_fma_f32 v5, -v5, v13, v14
	s_delay_alu instid0(VALU_DEP_1) | instskip(NEXT) | instid1(VALU_DEP_1)
	v_div_fmas_f32 v5, v5, v12, v13
	v_div_fixup_f32 v3, v5, v11, v3
	s_delay_alu instid0(VALU_DEP_1) | instskip(SKIP_1) | instid1(VALU_DEP_2)
	v_minmax_num_f32 v5, v3, s5, 0xc3600000
	v_mov_b32_e32 v3, 0x80
	v_and_b32_e32 v12, 0x7fffffff, v5
	s_wait_xcnt 0x0
	s_delay_alu instid0(VALU_DEP_1)
	v_cmpx_gt_u32_e32 0x43800000, v12
	s_cbranch_execz .LBB16_137
; %bb.132:                              ;   in Loop: Header=BB16_81 Depth=1
	v_cmp_lt_u32_e32 vcc_lo, 0x3bffffff, v12
	s_mov_b32 s10, 0
                                        ; implicit-def: $vgpr12
	s_and_saveexec_b32 s12, vcc_lo
	s_delay_alu instid0(SALU_CYCLE_1)
	s_xor_b32 s12, exec_lo, s12
	s_cbranch_execnz .LBB16_194
; %bb.133:                              ;   in Loop: Header=BB16_81 Depth=1
	s_and_not1_saveexec_b32 s12, s12
	s_cbranch_execnz .LBB16_195
.LBB16_134:                             ;   in Loop: Header=BB16_81 Depth=1
	s_or_b32 exec_lo, exec_lo, s12
	v_mov_b32_e32 v3, 0
	s_and_saveexec_b32 s12, s10
.LBB16_135:                             ;   in Loop: Header=BB16_81 Depth=1
	v_lshrrev_b32_e32 v3, 24, v5
	s_delay_alu instid0(VALU_DEP_1)
	v_and_or_b32 v3, 0x80, v3, v12
.LBB16_136:                             ;   in Loop: Header=BB16_81 Depth=1
	s_or_b32 exec_lo, exec_lo, s12
.LBB16_137:                             ;   in Loop: Header=BB16_81 Depth=1
	s_delay_alu instid0(SALU_CYCLE_1) | instskip(SKIP_3) | instid1(VALU_DEP_2)
	s_or_b32 exec_lo, exec_lo, s9
	v_and_b32_e32 v5, 0xffff0000, v8
	v_and_b32_e32 v13, 0xffff0000, v6
	s_mov_b32 s9, exec_lo
	v_mul_f32_e32 v5, v10, v5
	s_delay_alu instid0(VALU_DEP_1) | instskip(SKIP_1) | instid1(VALU_DEP_2)
	v_bfe_u32 v12, v5, 16, 1
	v_cmp_o_f32_e32 vcc_lo, v5, v5
	v_add3_u32 v12, v5, v12, 0x7fff
	s_delay_alu instid0(VALU_DEP_1) | instskip(NEXT) | instid1(VALU_DEP_1)
	v_and_b32_e32 v12, 0xffff0000, v12
	v_cndmask_b32_e32 v5, 0x7fc00000, v12, vcc_lo
	s_delay_alu instid0(VALU_DEP_1) | instskip(NEXT) | instid1(VALU_DEP_1)
	v_mul_f32_e32 v5, v5, v13
	v_bfe_u32 v12, v5, 16, 1
	v_cmp_o_f32_e32 vcc_lo, v5, v5
	s_delay_alu instid0(VALU_DEP_2) | instskip(NEXT) | instid1(VALU_DEP_1)
	v_add3_u32 v12, v5, v12, 0x7fff
	v_and_b32_e32 v12, 0xffff0000, v12
	s_delay_alu instid0(VALU_DEP_1) | instskip(NEXT) | instid1(VALU_DEP_1)
	v_cndmask_b32_e32 v5, 0x7fc00000, v12, vcc_lo
	v_div_scale_f32 v12, null, v11, v11, v5
	v_div_scale_f32 v15, vcc_lo, v5, v11, v5
	s_delay_alu instid0(VALU_DEP_2) | instskip(SKIP_1) | instid1(TRANS32_DEP_1)
	v_rcp_f32_e32 v13, v12
	v_nop
	v_fma_f32 v14, -v12, v13, 1.0
	s_delay_alu instid0(VALU_DEP_1) | instskip(NEXT) | instid1(VALU_DEP_1)
	v_fmac_f32_e32 v13, v14, v13
	v_mul_f32_e32 v14, v15, v13
	s_delay_alu instid0(VALU_DEP_1) | instskip(NEXT) | instid1(VALU_DEP_1)
	v_fma_f32 v16, -v12, v14, v15
	v_fmac_f32_e32 v14, v16, v13
	s_delay_alu instid0(VALU_DEP_1) | instskip(NEXT) | instid1(VALU_DEP_1)
	v_fma_f32 v12, -v12, v14, v15
	v_div_fmas_f32 v12, v12, v13, v14
	s_delay_alu instid0(VALU_DEP_1) | instskip(SKIP_1) | instid1(VALU_DEP_2)
	v_div_fixup_f32 v5, v12, v11, v5
	v_mov_b32_e32 v12, 0x8000
	v_minmax_num_f32 v5, v5, s5, 0xc3600000
	s_delay_alu instid0(VALU_DEP_1) | instskip(NEXT) | instid1(VALU_DEP_1)
	v_and_b32_e32 v13, 0x7fffffff, v5
	v_cmpx_gt_u32_e32 0x43800000, v13
	s_cbranch_execz .LBB16_143
; %bb.138:                              ;   in Loop: Header=BB16_81 Depth=1
	v_cmp_lt_u32_e32 vcc_lo, 0x3bffffff, v13
	s_mov_b32 s10, 0
                                        ; implicit-def: $vgpr13
	s_and_saveexec_b32 s12, vcc_lo
	s_delay_alu instid0(SALU_CYCLE_1)
	s_xor_b32 s12, exec_lo, s12
	s_cbranch_execnz .LBB16_196
; %bb.139:                              ;   in Loop: Header=BB16_81 Depth=1
	s_and_not1_saveexec_b32 s12, s12
	s_cbranch_execnz .LBB16_197
.LBB16_140:                             ;   in Loop: Header=BB16_81 Depth=1
	s_or_b32 exec_lo, exec_lo, s12
	v_mov_b32_e32 v12, 0
	s_and_saveexec_b32 s12, s10
.LBB16_141:                             ;   in Loop: Header=BB16_81 Depth=1
	v_lshrrev_b32_e32 v5, 24, v5
	s_delay_alu instid0(VALU_DEP_1) | instskip(NEXT) | instid1(VALU_DEP_1)
	v_and_or_b32 v5, 0x80, v5, v13
	v_lshlrev_b32_e32 v12, 8, v5
.LBB16_142:                             ;   in Loop: Header=BB16_81 Depth=1
	s_or_b32 exec_lo, exec_lo, s12
.LBB16_143:                             ;   in Loop: Header=BB16_81 Depth=1
	s_delay_alu instid0(SALU_CYCLE_1) | instskip(SKIP_3) | instid1(VALU_DEP_2)
	s_or_b32 exec_lo, exec_lo, s9
	v_alignbit_b32 v5, v9, v8, 16
	v_alignbit_b32 v6, v7, v6, 16
	s_mov_b32 s9, exec_lo
	v_and_b32_e32 v5, 0xffff0000, v5
	s_delay_alu instid0(VALU_DEP_2) | instskip(NEXT) | instid1(VALU_DEP_2)
	v_and_b32_e32 v6, 0xffff0000, v6
	v_mul_f32_e32 v5, v10, v5
	s_delay_alu instid0(VALU_DEP_1) | instskip(SKIP_1) | instid1(VALU_DEP_2)
	v_bfe_u32 v8, v5, 16, 1
	v_cmp_o_f32_e32 vcc_lo, v5, v5
	v_add3_u32 v8, v5, v8, 0x7fff
	s_delay_alu instid0(VALU_DEP_1) | instskip(NEXT) | instid1(VALU_DEP_1)
	v_and_b32_e32 v8, 0xffff0000, v8
	v_cndmask_b32_e32 v5, 0x7fc00000, v8, vcc_lo
	s_delay_alu instid0(VALU_DEP_1) | instskip(NEXT) | instid1(VALU_DEP_1)
	v_mul_f32_e32 v5, v5, v6
	v_bfe_u32 v6, v5, 16, 1
	v_cmp_o_f32_e32 vcc_lo, v5, v5
	s_delay_alu instid0(VALU_DEP_2) | instskip(NEXT) | instid1(VALU_DEP_1)
	v_add3_u32 v6, v5, v6, 0x7fff
	v_and_b32_e32 v6, 0xffff0000, v6
	s_delay_alu instid0(VALU_DEP_1) | instskip(NEXT) | instid1(VALU_DEP_1)
	v_cndmask_b32_e32 v5, 0x7fc00000, v6, vcc_lo
	v_div_scale_f32 v6, null, v11, v11, v5
	v_div_scale_f32 v14, vcc_lo, v5, v11, v5
	s_delay_alu instid0(VALU_DEP_2) | instskip(SKIP_1) | instid1(TRANS32_DEP_1)
	v_rcp_f32_e32 v8, v6
	v_nop
	v_fma_f32 v13, -v6, v8, 1.0
	s_delay_alu instid0(VALU_DEP_1) | instskip(NEXT) | instid1(VALU_DEP_1)
	v_fmac_f32_e32 v8, v13, v8
	v_mul_f32_e32 v13, v14, v8
	s_delay_alu instid0(VALU_DEP_1) | instskip(NEXT) | instid1(VALU_DEP_1)
	v_fma_f32 v15, -v6, v13, v14
	v_fmac_f32_e32 v13, v15, v8
	s_delay_alu instid0(VALU_DEP_1) | instskip(NEXT) | instid1(VALU_DEP_1)
	v_fma_f32 v6, -v6, v13, v14
	v_div_fmas_f32 v6, v6, v8, v13
	s_delay_alu instid0(VALU_DEP_1) | instskip(SKIP_1) | instid1(VALU_DEP_2)
	v_div_fixup_f32 v5, v6, v11, v5
	v_mov_b32_e32 v6, 0x800000
	v_minmax_num_f32 v5, v5, s5, 0xc3600000
	s_delay_alu instid0(VALU_DEP_1) | instskip(NEXT) | instid1(VALU_DEP_1)
	v_and_b32_e32 v8, 0x7fffffff, v5
	v_cmpx_gt_u32_e32 0x43800000, v8
	s_cbranch_execz .LBB16_149
; %bb.144:                              ;   in Loop: Header=BB16_81 Depth=1
	v_cmp_lt_u32_e32 vcc_lo, 0x3bffffff, v8
	s_mov_b32 s10, 0
                                        ; implicit-def: $vgpr8
	s_and_saveexec_b32 s12, vcc_lo
	s_delay_alu instid0(SALU_CYCLE_1)
	s_xor_b32 s12, exec_lo, s12
	s_cbranch_execnz .LBB16_198
; %bb.145:                              ;   in Loop: Header=BB16_81 Depth=1
	s_and_not1_saveexec_b32 s12, s12
	s_cbranch_execnz .LBB16_199
.LBB16_146:                             ;   in Loop: Header=BB16_81 Depth=1
	s_or_b32 exec_lo, exec_lo, s12
	v_mov_b32_e32 v6, 0
	s_and_saveexec_b32 s12, s10
.LBB16_147:                             ;   in Loop: Header=BB16_81 Depth=1
	v_lshrrev_b32_e32 v5, 24, v5
	s_delay_alu instid0(VALU_DEP_1) | instskip(NEXT) | instid1(VALU_DEP_1)
	v_and_or_b32 v5, 0x80, v5, v8
	v_lshlrev_b32_e32 v6, 16, v5
.LBB16_148:                             ;   in Loop: Header=BB16_81 Depth=1
	s_or_b32 exec_lo, exec_lo, s12
.LBB16_149:                             ;   in Loop: Header=BB16_81 Depth=1
	s_delay_alu instid0(SALU_CYCLE_1) | instskip(SKIP_3) | instid1(VALU_DEP_2)
	s_or_b32 exec_lo, exec_lo, s9
	v_and_b32_e32 v5, 0xffff0000, v9
	v_and_b32_e32 v7, 0xffff0000, v7
	s_mov_b32 s9, exec_lo
	v_mul_f32_e32 v5, v10, v5
	s_delay_alu instid0(VALU_DEP_1) | instskip(SKIP_1) | instid1(VALU_DEP_2)
	v_bfe_u32 v8, v5, 16, 1
	v_cmp_o_f32_e32 vcc_lo, v5, v5
	v_add3_u32 v8, v5, v8, 0x7fff
	s_delay_alu instid0(VALU_DEP_1) | instskip(NEXT) | instid1(VALU_DEP_1)
	v_and_b32_e32 v8, 0xffff0000, v8
	v_cndmask_b32_e32 v5, 0x7fc00000, v8, vcc_lo
	s_delay_alu instid0(VALU_DEP_1) | instskip(NEXT) | instid1(VALU_DEP_1)
	v_mul_f32_e32 v5, v5, v7
	v_bfe_u32 v7, v5, 16, 1
	v_cmp_o_f32_e32 vcc_lo, v5, v5
	s_delay_alu instid0(VALU_DEP_2) | instskip(NEXT) | instid1(VALU_DEP_1)
	v_add3_u32 v7, v5, v7, 0x7fff
	v_and_b32_e32 v7, 0xffff0000, v7
	s_delay_alu instid0(VALU_DEP_1) | instskip(NEXT) | instid1(VALU_DEP_1)
	v_cndmask_b32_e32 v5, 0x7fc00000, v7, vcc_lo
	v_div_scale_f32 v7, null, v11, v11, v5
	v_div_scale_f32 v13, vcc_lo, v5, v11, v5
	s_delay_alu instid0(VALU_DEP_2) | instskip(SKIP_1) | instid1(TRANS32_DEP_1)
	v_rcp_f32_e32 v8, v7
	v_nop
	v_fma_f32 v9, -v7, v8, 1.0
	s_delay_alu instid0(VALU_DEP_1) | instskip(NEXT) | instid1(VALU_DEP_1)
	v_fmac_f32_e32 v8, v9, v8
	v_mul_f32_e32 v9, v13, v8
	s_delay_alu instid0(VALU_DEP_1) | instskip(NEXT) | instid1(VALU_DEP_1)
	v_fma_f32 v14, -v7, v9, v13
	v_fmac_f32_e32 v9, v14, v8
	s_delay_alu instid0(VALU_DEP_1) | instskip(NEXT) | instid1(VALU_DEP_1)
	v_fma_f32 v7, -v7, v9, v13
	v_div_fmas_f32 v7, v7, v8, v9
	v_bfrev_b32_e32 v8, 1
	s_delay_alu instid0(VALU_DEP_2) | instskip(NEXT) | instid1(VALU_DEP_1)
	v_div_fixup_f32 v5, v7, v11, v5
	v_minmax_num_f32 v5, v5, s5, 0xc3600000
	s_delay_alu instid0(VALU_DEP_1) | instskip(NEXT) | instid1(VALU_DEP_1)
	v_and_b32_e32 v7, 0x7fffffff, v5
	v_cmpx_gt_u32_e32 0x43800000, v7
	s_cbranch_execz .LBB16_155
; %bb.150:                              ;   in Loop: Header=BB16_81 Depth=1
	v_cmp_lt_u32_e32 vcc_lo, 0x3bffffff, v7
	s_mov_b32 s10, 0
                                        ; implicit-def: $vgpr7
	s_and_saveexec_b32 s12, vcc_lo
	s_delay_alu instid0(SALU_CYCLE_1)
	s_xor_b32 s12, exec_lo, s12
	s_cbranch_execnz .LBB16_200
; %bb.151:                              ;   in Loop: Header=BB16_81 Depth=1
	s_and_not1_saveexec_b32 s12, s12
	s_cbranch_execnz .LBB16_201
.LBB16_152:                             ;   in Loop: Header=BB16_81 Depth=1
	s_or_b32 exec_lo, exec_lo, s12
	v_mov_b32_e32 v8, 0
	s_and_saveexec_b32 s12, s10
.LBB16_153:                             ;   in Loop: Header=BB16_81 Depth=1
	v_and_b32_e32 v5, 0x80000000, v5
	s_delay_alu instid0(VALU_DEP_1)
	v_lshl_or_b32 v8, v7, 24, v5
.LBB16_154:                             ;   in Loop: Header=BB16_81 Depth=1
	s_or_b32 exec_lo, exec_lo, s12
.LBB16_155:                             ;   in Loop: Header=BB16_81 Depth=1
	s_delay_alu instid0(SALU_CYCLE_1) | instskip(SKIP_4) | instid1(VALU_DEP_2)
	s_or_b32 exec_lo, exec_lo, s9
	v_dual_mov_b32 v5, v1 :: v_dual_bitop2_b32 v3, v12, v3 bitop3:0x54
	v_add_nc_u32_e32 v0, s3, v0
	s_mov_b32 s10, -1
	s_mov_b32 s9, exec_lo
	v_lshl_add_u64 v[4:5], v[4:5], 2, s[0:1]
	v_or3_b32 v3, v3, v6, v8
	global_store_b32 v[4:5], v3, off
	s_wait_xcnt 0x0
	v_cmpx_gt_u32_e64 s11, v0
	s_cbranch_execz .LBB16_78
; %bb.156:                              ;   in Loop: Header=BB16_81 Depth=1
	s_clause 0x1
	global_load_b64 v[6:7], v0, s[16:17] scale_offset
	global_load_b64 v[4:5], v0, s[18:19] scale_offset
	s_mov_b32 s10, exec_lo
	s_wait_loadcnt 0x0
	v_dual_lshlrev_b32 v3, 16, v6 :: v_dual_lshlrev_b32 v9, 16, v4
	s_delay_alu instid0(VALU_DEP_1) | instskip(NEXT) | instid1(VALU_DEP_1)
	v_mul_f32_e32 v3, v10, v3
	v_bfe_u32 v8, v3, 16, 1
	v_cmp_o_f32_e32 vcc_lo, v3, v3
	s_delay_alu instid0(VALU_DEP_2) | instskip(NEXT) | instid1(VALU_DEP_1)
	v_add3_u32 v8, v3, v8, 0x7fff
	v_and_b32_e32 v8, 0xffff0000, v8
	s_delay_alu instid0(VALU_DEP_1) | instskip(NEXT) | instid1(VALU_DEP_1)
	v_cndmask_b32_e32 v3, 0x7fc00000, v8, vcc_lo
	v_mul_f32_e32 v3, v3, v9
	s_delay_alu instid0(VALU_DEP_1) | instskip(SKIP_1) | instid1(VALU_DEP_2)
	v_bfe_u32 v8, v3, 16, 1
	v_cmp_o_f32_e32 vcc_lo, v3, v3
	v_add3_u32 v8, v3, v8, 0x7fff
	s_delay_alu instid0(VALU_DEP_1) | instskip(NEXT) | instid1(VALU_DEP_1)
	v_and_b32_e32 v8, 0xffff0000, v8
	v_cndmask_b32_e32 v3, 0x7fc00000, v8, vcc_lo
	s_delay_alu instid0(VALU_DEP_1) | instskip(SKIP_1) | instid1(VALU_DEP_2)
	v_div_scale_f32 v8, null, v11, v11, v3
	v_div_scale_f32 v13, vcc_lo, v3, v11, v3
	v_rcp_f32_e32 v9, v8
	v_nop
	s_delay_alu instid0(TRANS32_DEP_1) | instskip(NEXT) | instid1(VALU_DEP_1)
	v_fma_f32 v12, -v8, v9, 1.0
	v_fmac_f32_e32 v9, v12, v9
	s_delay_alu instid0(VALU_DEP_1) | instskip(NEXT) | instid1(VALU_DEP_1)
	v_mul_f32_e32 v12, v13, v9
	v_fma_f32 v14, -v8, v12, v13
	s_delay_alu instid0(VALU_DEP_1) | instskip(NEXT) | instid1(VALU_DEP_1)
	v_fmac_f32_e32 v12, v14, v9
	v_fma_f32 v8, -v8, v12, v13
	s_delay_alu instid0(VALU_DEP_1) | instskip(NEXT) | instid1(VALU_DEP_1)
	v_div_fmas_f32 v8, v8, v9, v12
	v_div_fixup_f32 v3, v8, v11, v3
	s_delay_alu instid0(VALU_DEP_1) | instskip(SKIP_1) | instid1(VALU_DEP_2)
	v_minmax_num_f32 v8, v3, s5, 0xc3600000
	v_mov_b32_e32 v3, 0x80
	v_and_b32_e32 v9, 0x7fffffff, v8
	s_wait_xcnt 0x0
	s_delay_alu instid0(VALU_DEP_1)
	v_cmpx_gt_u32_e32 0x43800000, v9
	s_cbranch_execz .LBB16_162
; %bb.157:                              ;   in Loop: Header=BB16_81 Depth=1
	v_cmp_lt_u32_e32 vcc_lo, 0x3bffffff, v9
	s_mov_b32 s12, 0
                                        ; implicit-def: $vgpr9
	s_and_saveexec_b32 s13, vcc_lo
	s_delay_alu instid0(SALU_CYCLE_1)
	s_xor_b32 s13, exec_lo, s13
	s_cbranch_execnz .LBB16_202
; %bb.158:                              ;   in Loop: Header=BB16_81 Depth=1
	s_and_not1_saveexec_b32 s13, s13
	s_cbranch_execnz .LBB16_203
.LBB16_159:                             ;   in Loop: Header=BB16_81 Depth=1
	s_or_b32 exec_lo, exec_lo, s13
	v_mov_b32_e32 v3, 0
	s_and_saveexec_b32 s13, s12
.LBB16_160:                             ;   in Loop: Header=BB16_81 Depth=1
	v_lshrrev_b32_e32 v3, 24, v8
	s_delay_alu instid0(VALU_DEP_1)
	v_and_or_b32 v3, 0x80, v3, v9
.LBB16_161:                             ;   in Loop: Header=BB16_81 Depth=1
	s_or_b32 exec_lo, exec_lo, s13
.LBB16_162:                             ;   in Loop: Header=BB16_81 Depth=1
	s_delay_alu instid0(SALU_CYCLE_1) | instskip(SKIP_3) | instid1(VALU_DEP_2)
	s_or_b32 exec_lo, exec_lo, s10
	v_and_b32_e32 v8, 0xffff0000, v6
	v_and_b32_e32 v12, 0xffff0000, v4
	s_mov_b32 s10, exec_lo
	v_mul_f32_e32 v8, v10, v8
	s_delay_alu instid0(VALU_DEP_1) | instskip(SKIP_1) | instid1(VALU_DEP_2)
	v_bfe_u32 v9, v8, 16, 1
	v_cmp_o_f32_e32 vcc_lo, v8, v8
	v_add3_u32 v9, v8, v9, 0x7fff
	s_delay_alu instid0(VALU_DEP_1) | instskip(NEXT) | instid1(VALU_DEP_1)
	v_and_b32_e32 v9, 0xffff0000, v9
	v_cndmask_b32_e32 v8, 0x7fc00000, v9, vcc_lo
	s_delay_alu instid0(VALU_DEP_1) | instskip(NEXT) | instid1(VALU_DEP_1)
	v_mul_f32_e32 v8, v8, v12
	v_bfe_u32 v9, v8, 16, 1
	v_cmp_o_f32_e32 vcc_lo, v8, v8
	s_delay_alu instid0(VALU_DEP_2) | instskip(NEXT) | instid1(VALU_DEP_1)
	v_add3_u32 v9, v8, v9, 0x7fff
	v_and_b32_e32 v9, 0xffff0000, v9
	s_delay_alu instid0(VALU_DEP_1) | instskip(NEXT) | instid1(VALU_DEP_1)
	v_cndmask_b32_e32 v8, 0x7fc00000, v9, vcc_lo
	v_div_scale_f32 v9, null, v11, v11, v8
	v_div_scale_f32 v14, vcc_lo, v8, v11, v8
	s_delay_alu instid0(VALU_DEP_2) | instskip(SKIP_1) | instid1(TRANS32_DEP_1)
	v_rcp_f32_e32 v12, v9
	v_nop
	v_fma_f32 v13, -v9, v12, 1.0
	s_delay_alu instid0(VALU_DEP_1) | instskip(NEXT) | instid1(VALU_DEP_1)
	v_fmac_f32_e32 v12, v13, v12
	v_mul_f32_e32 v13, v14, v12
	s_delay_alu instid0(VALU_DEP_1) | instskip(NEXT) | instid1(VALU_DEP_1)
	v_fma_f32 v15, -v9, v13, v14
	v_fmac_f32_e32 v13, v15, v12
	s_delay_alu instid0(VALU_DEP_1) | instskip(NEXT) | instid1(VALU_DEP_1)
	v_fma_f32 v9, -v9, v13, v14
	v_div_fmas_f32 v9, v9, v12, v13
	s_delay_alu instid0(VALU_DEP_1) | instskip(NEXT) | instid1(VALU_DEP_1)
	v_div_fixup_f32 v8, v9, v11, v8
	v_minmax_num_f32 v9, v8, s5, 0xc3600000
	v_mov_b32_e32 v8, 0x8000
	s_delay_alu instid0(VALU_DEP_2) | instskip(NEXT) | instid1(VALU_DEP_1)
	v_and_b32_e32 v12, 0x7fffffff, v9
	v_cmpx_gt_u32_e32 0x43800000, v12
	s_cbranch_execz .LBB16_168
; %bb.163:                              ;   in Loop: Header=BB16_81 Depth=1
	v_cmp_lt_u32_e32 vcc_lo, 0x3bffffff, v12
	s_mov_b32 s12, 0
                                        ; implicit-def: $vgpr12
	s_and_saveexec_b32 s13, vcc_lo
	s_delay_alu instid0(SALU_CYCLE_1)
	s_xor_b32 s13, exec_lo, s13
	s_cbranch_execnz .LBB16_204
; %bb.164:                              ;   in Loop: Header=BB16_81 Depth=1
	s_and_not1_saveexec_b32 s13, s13
	s_cbranch_execnz .LBB16_205
.LBB16_165:                             ;   in Loop: Header=BB16_81 Depth=1
	s_or_b32 exec_lo, exec_lo, s13
	v_mov_b32_e32 v8, 0
	s_and_saveexec_b32 s13, s12
.LBB16_166:                             ;   in Loop: Header=BB16_81 Depth=1
	v_lshrrev_b32_e32 v8, 24, v9
	s_delay_alu instid0(VALU_DEP_1) | instskip(NEXT) | instid1(VALU_DEP_1)
	v_and_or_b32 v8, 0x80, v8, v12
	v_lshlrev_b32_e32 v8, 8, v8
.LBB16_167:                             ;   in Loop: Header=BB16_81 Depth=1
	s_or_b32 exec_lo, exec_lo, s13
.LBB16_168:                             ;   in Loop: Header=BB16_81 Depth=1
	s_delay_alu instid0(SALU_CYCLE_1) | instskip(SKIP_3) | instid1(VALU_DEP_2)
	s_or_b32 exec_lo, exec_lo, s10
	v_alignbit_b32 v6, v7, v6, 16
	v_alignbit_b32 v4, v5, v4, 16
	s_mov_b32 s10, exec_lo
	v_and_b32_e32 v6, 0xffff0000, v6
	s_delay_alu instid0(VALU_DEP_2) | instskip(NEXT) | instid1(VALU_DEP_2)
	v_and_b32_e32 v4, 0xffff0000, v4
	v_mul_f32_e32 v6, v10, v6
	s_delay_alu instid0(VALU_DEP_1) | instskip(SKIP_1) | instid1(VALU_DEP_2)
	v_bfe_u32 v9, v6, 16, 1
	v_cmp_o_f32_e32 vcc_lo, v6, v6
	v_add3_u32 v9, v6, v9, 0x7fff
	s_delay_alu instid0(VALU_DEP_1) | instskip(NEXT) | instid1(VALU_DEP_1)
	v_and_b32_e32 v9, 0xffff0000, v9
	v_cndmask_b32_e32 v6, 0x7fc00000, v9, vcc_lo
	s_delay_alu instid0(VALU_DEP_1) | instskip(NEXT) | instid1(VALU_DEP_1)
	v_mul_f32_e32 v4, v6, v4
	v_bfe_u32 v6, v4, 16, 1
	v_cmp_o_f32_e32 vcc_lo, v4, v4
	s_delay_alu instid0(VALU_DEP_2) | instskip(NEXT) | instid1(VALU_DEP_1)
	v_add3_u32 v6, v4, v6, 0x7fff
	v_and_b32_e32 v6, 0xffff0000, v6
	s_delay_alu instid0(VALU_DEP_1) | instskip(NEXT) | instid1(VALU_DEP_1)
	v_cndmask_b32_e32 v4, 0x7fc00000, v6, vcc_lo
	v_div_scale_f32 v6, null, v11, v11, v4
	v_div_scale_f32 v13, vcc_lo, v4, v11, v4
	s_delay_alu instid0(VALU_DEP_2) | instskip(SKIP_1) | instid1(TRANS32_DEP_1)
	v_rcp_f32_e32 v9, v6
	v_nop
	v_fma_f32 v12, -v6, v9, 1.0
	s_delay_alu instid0(VALU_DEP_1) | instskip(NEXT) | instid1(VALU_DEP_1)
	v_fmac_f32_e32 v9, v12, v9
	v_mul_f32_e32 v12, v13, v9
	s_delay_alu instid0(VALU_DEP_1) | instskip(NEXT) | instid1(VALU_DEP_1)
	v_fma_f32 v14, -v6, v12, v13
	v_fmac_f32_e32 v12, v14, v9
	s_delay_alu instid0(VALU_DEP_1) | instskip(NEXT) | instid1(VALU_DEP_1)
	v_fma_f32 v6, -v6, v12, v13
	v_div_fmas_f32 v6, v6, v9, v12
	s_delay_alu instid0(VALU_DEP_1) | instskip(NEXT) | instid1(VALU_DEP_1)
	v_div_fixup_f32 v4, v6, v11, v4
	v_minmax_num_f32 v6, v4, s5, 0xc3600000
	v_mov_b32_e32 v4, 0x800000
	s_delay_alu instid0(VALU_DEP_2) | instskip(NEXT) | instid1(VALU_DEP_1)
	v_and_b32_e32 v9, 0x7fffffff, v6
	v_cmpx_gt_u32_e32 0x43800000, v9
	s_cbranch_execz .LBB16_174
; %bb.169:                              ;   in Loop: Header=BB16_81 Depth=1
	v_cmp_lt_u32_e32 vcc_lo, 0x3bffffff, v9
	s_mov_b32 s12, 0
                                        ; implicit-def: $vgpr9
	s_and_saveexec_b32 s13, vcc_lo
	s_delay_alu instid0(SALU_CYCLE_1)
	s_xor_b32 s13, exec_lo, s13
	s_cbranch_execnz .LBB16_206
; %bb.170:                              ;   in Loop: Header=BB16_81 Depth=1
	s_and_not1_saveexec_b32 s13, s13
	s_cbranch_execnz .LBB16_207
.LBB16_171:                             ;   in Loop: Header=BB16_81 Depth=1
	s_or_b32 exec_lo, exec_lo, s13
	v_mov_b32_e32 v4, 0
	s_and_saveexec_b32 s13, s12
.LBB16_172:                             ;   in Loop: Header=BB16_81 Depth=1
	v_lshrrev_b32_e32 v4, 24, v6
	s_delay_alu instid0(VALU_DEP_1) | instskip(NEXT) | instid1(VALU_DEP_1)
	v_and_or_b32 v4, 0x80, v4, v9
	v_lshlrev_b32_e32 v4, 16, v4
.LBB16_173:                             ;   in Loop: Header=BB16_81 Depth=1
	s_or_b32 exec_lo, exec_lo, s13
.LBB16_174:                             ;   in Loop: Header=BB16_81 Depth=1
	s_delay_alu instid0(SALU_CYCLE_1) | instskip(SKIP_3) | instid1(VALU_DEP_2)
	s_or_b32 exec_lo, exec_lo, s10
	v_and_b32_e32 v6, 0xffff0000, v7
	v_and_b32_e32 v5, 0xffff0000, v5
	s_mov_b32 s10, exec_lo
	v_mul_f32_e32 v6, v10, v6
	s_delay_alu instid0(VALU_DEP_1) | instskip(SKIP_1) | instid1(VALU_DEP_2)
	v_bfe_u32 v7, v6, 16, 1
	v_cmp_o_f32_e32 vcc_lo, v6, v6
	v_add3_u32 v7, v6, v7, 0x7fff
	s_delay_alu instid0(VALU_DEP_1) | instskip(NEXT) | instid1(VALU_DEP_1)
	v_and_b32_e32 v7, 0xffff0000, v7
	v_cndmask_b32_e32 v6, 0x7fc00000, v7, vcc_lo
	s_delay_alu instid0(VALU_DEP_1) | instskip(NEXT) | instid1(VALU_DEP_1)
	v_mul_f32_e32 v5, v6, v5
	v_bfe_u32 v6, v5, 16, 1
	v_cmp_o_f32_e32 vcc_lo, v5, v5
	s_delay_alu instid0(VALU_DEP_2) | instskip(NEXT) | instid1(VALU_DEP_1)
	v_add3_u32 v6, v5, v6, 0x7fff
	v_and_b32_e32 v6, 0xffff0000, v6
	s_delay_alu instid0(VALU_DEP_1) | instskip(NEXT) | instid1(VALU_DEP_1)
	v_cndmask_b32_e32 v5, 0x7fc00000, v6, vcc_lo
	v_div_scale_f32 v6, null, v11, v11, v5
	v_div_scale_f32 v12, vcc_lo, v5, v11, v5
	s_delay_alu instid0(VALU_DEP_2) | instskip(SKIP_1) | instid1(TRANS32_DEP_1)
	v_rcp_f32_e32 v7, v6
	v_nop
	v_fma_f32 v9, -v6, v7, 1.0
	s_delay_alu instid0(VALU_DEP_1) | instskip(NEXT) | instid1(VALU_DEP_1)
	v_fmac_f32_e32 v7, v9, v7
	v_mul_f32_e32 v9, v12, v7
	s_delay_alu instid0(VALU_DEP_1) | instskip(NEXT) | instid1(VALU_DEP_1)
	v_fma_f32 v13, -v6, v9, v12
	v_fmac_f32_e32 v9, v13, v7
	s_delay_alu instid0(VALU_DEP_1) | instskip(NEXT) | instid1(VALU_DEP_1)
	v_fma_f32 v6, -v6, v9, v12
	v_div_fmas_f32 v6, v6, v7, v9
	v_bfrev_b32_e32 v7, 1
	s_delay_alu instid0(VALU_DEP_2) | instskip(NEXT) | instid1(VALU_DEP_1)
	v_div_fixup_f32 v5, v6, v11, v5
	v_minmax_num_f32 v5, v5, s5, 0xc3600000
	s_delay_alu instid0(VALU_DEP_1) | instskip(NEXT) | instid1(VALU_DEP_1)
	v_and_b32_e32 v6, 0x7fffffff, v5
	v_cmpx_gt_u32_e32 0x43800000, v6
	s_cbranch_execz .LBB16_77
; %bb.175:                              ;   in Loop: Header=BB16_81 Depth=1
	v_cmp_lt_u32_e32 vcc_lo, 0x3bffffff, v6
	s_mov_b32 s12, 0
                                        ; implicit-def: $vgpr6
	s_and_saveexec_b32 s13, vcc_lo
	s_delay_alu instid0(SALU_CYCLE_1)
	s_xor_b32 s13, exec_lo, s13
	s_cbranch_execnz .LBB16_208
; %bb.176:                              ;   in Loop: Header=BB16_81 Depth=1
	s_and_not1_saveexec_b32 s13, s13
	s_cbranch_execnz .LBB16_209
.LBB16_177:                             ;   in Loop: Header=BB16_81 Depth=1
	s_or_b32 exec_lo, exec_lo, s13
	v_mov_b32_e32 v7, 0
	s_and_saveexec_b32 s13, s12
	s_cbranch_execz .LBB16_76
	s_branch .LBB16_210
.LBB16_178:                             ;   in Loop: Header=BB16_81 Depth=1
	v_bfe_u32 v6, v7, 20, 1
	s_mov_b32 s8, exec_lo
	s_delay_alu instid0(VALU_DEP_1) | instskip(NEXT) | instid1(VALU_DEP_1)
	v_add3_u32 v6, v7, v6, 0x487ffff
	v_bfe_u32 v8, v6, 20, 8
	s_and_not1_saveexec_b32 s9, s9
	s_cbranch_execz .LBB16_84
.LBB16_179:                             ;   in Loop: Header=BB16_81 Depth=1
	v_add_f32_e64 v6, 0x46000000, |v7|
	s_and_not1_b32 s8, s8, exec_lo
	s_delay_alu instid0(VALU_DEP_1) | instskip(NEXT) | instid1(VALU_DEP_1)
	v_and_b32_e32 v8, 0xff, v6
	v_cmp_ne_u32_e32 vcc_lo, 0, v8
	s_and_b32 s10, vcc_lo, exec_lo
	s_delay_alu instid0(SALU_CYCLE_1)
	s_or_b32 s8, s8, s10
	s_or_b32 exec_lo, exec_lo, s9
	v_mov_b32_e32 v6, 0
	s_and_saveexec_b32 s9, s8
	s_cbranch_execnz .LBB16_85
	s_branch .LBB16_86
.LBB16_180:                             ;   in Loop: Header=BB16_81 Depth=1
	v_bfe_u32 v7, v8, 20, 1
	s_mov_b32 s8, exec_lo
	s_delay_alu instid0(VALU_DEP_1) | instskip(NEXT) | instid1(VALU_DEP_1)
	v_add3_u32 v7, v8, v7, 0x487ffff
	v_bfe_u32 v9, v7, 20, 8
	s_and_not1_saveexec_b32 s9, s9
	s_cbranch_execz .LBB16_90
.LBB16_181:                             ;   in Loop: Header=BB16_81 Depth=1
	v_add_f32_e64 v7, 0x46000000, |v8|
	s_and_not1_b32 s8, s8, exec_lo
	s_delay_alu instid0(VALU_DEP_1) | instskip(NEXT) | instid1(VALU_DEP_1)
	v_and_b32_e32 v9, 0xff, v7
	v_cmp_ne_u32_e32 vcc_lo, 0, v9
	s_and_b32 s10, vcc_lo, exec_lo
	s_delay_alu instid0(SALU_CYCLE_1)
	s_or_b32 s8, s8, s10
	s_or_b32 exec_lo, exec_lo, s9
	v_mov_b32_e32 v7, 0
	s_and_saveexec_b32 s9, s8
	s_cbranch_execnz .LBB16_91
	s_branch .LBB16_92
.LBB16_182:                             ;   in Loop: Header=BB16_81 Depth=1
	v_bfe_u32 v4, v2, 20, 1
	s_mov_b32 s8, exec_lo
	s_delay_alu instid0(VALU_DEP_1) | instskip(NEXT) | instid1(VALU_DEP_1)
	v_add3_u32 v4, v2, v4, 0x487ffff
	v_bfe_u32 v8, v4, 20, 8
	s_and_not1_saveexec_b32 s9, s9
	s_cbranch_execz .LBB16_96
.LBB16_183:                             ;   in Loop: Header=BB16_81 Depth=1
	v_add_f32_e64 v4, 0x46000000, |v2|
	s_and_not1_b32 s8, s8, exec_lo
	s_delay_alu instid0(VALU_DEP_1) | instskip(NEXT) | instid1(VALU_DEP_1)
	v_and_b32_e32 v8, 0xff, v4
	v_cmp_ne_u32_e32 vcc_lo, 0, v8
	s_and_b32 s10, vcc_lo, exec_lo
	s_delay_alu instid0(SALU_CYCLE_1)
	s_or_b32 s8, s8, s10
	s_or_b32 exec_lo, exec_lo, s9
	v_mov_b32_e32 v4, 0
	s_and_saveexec_b32 s9, s8
	s_cbranch_execnz .LBB16_97
	s_branch .LBB16_98
.LBB16_184:                             ;   in Loop: Header=BB16_81 Depth=1
	v_bfe_u32 v3, v2, 20, 1
	s_mov_b32 s8, exec_lo
	s_delay_alu instid0(VALU_DEP_1) | instskip(NEXT) | instid1(VALU_DEP_1)
	v_add3_u32 v3, v2, v3, 0x487ffff
	v_bfe_u32 v3, v3, 20, 8
	s_and_not1_saveexec_b32 s9, s9
	s_cbranch_execz .LBB16_102
.LBB16_185:                             ;   in Loop: Header=BB16_81 Depth=1
	v_add_f32_e64 v3, 0x46000000, |v2|
	s_and_not1_b32 s8, s8, exec_lo
	s_delay_alu instid0(VALU_DEP_1) | instskip(NEXT) | instid1(VALU_DEP_1)
	v_and_b32_e32 v3, 0xff, v3
	v_cmp_ne_u32_e32 vcc_lo, 0, v3
	s_and_b32 s10, vcc_lo, exec_lo
	s_delay_alu instid0(SALU_CYCLE_1)
	s_or_b32 s8, s8, s10
	s_or_b32 exec_lo, exec_lo, s9
	v_mov_b32_e32 v5, 0
	s_and_saveexec_b32 s9, s8
	s_cbranch_execnz .LBB16_103
	s_branch .LBB16_104
.LBB16_186:                             ;   in Loop: Header=BB16_81 Depth=1
	v_bfe_u32 v8, v3, 20, 1
	s_mov_b32 s9, exec_lo
	s_delay_alu instid0(VALU_DEP_1) | instskip(NEXT) | instid1(VALU_DEP_1)
	v_add3_u32 v8, v3, v8, 0x487ffff
	v_bfe_u32 v9, v8, 20, 8
	s_and_not1_saveexec_b32 s10, s10
	s_cbranch_execz .LBB16_109
.LBB16_187:                             ;   in Loop: Header=BB16_81 Depth=1
	v_add_f32_e64 v8, 0x46000000, |v3|
	s_and_not1_b32 s9, s9, exec_lo
	s_delay_alu instid0(VALU_DEP_1) | instskip(NEXT) | instid1(VALU_DEP_1)
	v_and_b32_e32 v9, 0xff, v8
	v_cmp_ne_u32_e32 vcc_lo, 0, v9
	s_and_b32 s12, vcc_lo, exec_lo
	s_delay_alu instid0(SALU_CYCLE_1)
	s_or_b32 s9, s9, s12
	s_or_b32 exec_lo, exec_lo, s10
	v_mov_b32_e32 v8, 0
	s_and_saveexec_b32 s10, s9
	s_cbranch_execnz .LBB16_110
	s_branch .LBB16_111
.LBB16_188:                             ;   in Loop: Header=BB16_81 Depth=1
	v_bfe_u32 v9, v3, 20, 1
	s_mov_b32 s9, exec_lo
	s_delay_alu instid0(VALU_DEP_1) | instskip(NEXT) | instid1(VALU_DEP_1)
	v_add3_u32 v9, v3, v9, 0x487ffff
	v_bfe_u32 v12, v9, 20, 8
	s_and_not1_saveexec_b32 s10, s10
	s_cbranch_execz .LBB16_115
.LBB16_189:                             ;   in Loop: Header=BB16_81 Depth=1
	v_add_f32_e64 v9, 0x46000000, |v3|
	s_and_not1_b32 s9, s9, exec_lo
	s_delay_alu instid0(VALU_DEP_1) | instskip(NEXT) | instid1(VALU_DEP_1)
	v_and_b32_e32 v12, 0xff, v9
	v_cmp_ne_u32_e32 vcc_lo, 0, v12
	s_and_b32 s12, vcc_lo, exec_lo
	s_delay_alu instid0(SALU_CYCLE_1)
	s_or_b32 s9, s9, s12
	s_or_b32 exec_lo, exec_lo, s10
	v_mov_b32_e32 v9, 0
	s_and_saveexec_b32 s10, s9
	s_cbranch_execnz .LBB16_116
	s_branch .LBB16_117
.LBB16_190:                             ;   in Loop: Header=BB16_81 Depth=1
	v_bfe_u32 v4, v3, 20, 1
	s_mov_b32 s9, exec_lo
	s_delay_alu instid0(VALU_DEP_1) | instskip(NEXT) | instid1(VALU_DEP_1)
	v_add3_u32 v4, v3, v4, 0x487ffff
	v_bfe_u32 v4, v4, 20, 8
	s_and_not1_saveexec_b32 s10, s10
	s_cbranch_execz .LBB16_121
.LBB16_191:                             ;   in Loop: Header=BB16_81 Depth=1
	v_add_f32_e64 v4, 0x46000000, |v3|
	s_and_not1_b32 s9, s9, exec_lo
	s_delay_alu instid0(VALU_DEP_1) | instskip(NEXT) | instid1(VALU_DEP_1)
	v_and_b32_e32 v4, 0xff, v4
	v_cmp_ne_u32_e32 vcc_lo, 0, v4
	s_and_b32 s12, vcc_lo, exec_lo
	s_delay_alu instid0(SALU_CYCLE_1)
	s_or_b32 s9, s9, s12
	s_or_b32 exec_lo, exec_lo, s10
	v_mov_b32_e32 v6, 0
	s_and_saveexec_b32 s10, s9
	s_cbranch_execnz .LBB16_122
	s_branch .LBB16_123
.LBB16_192:                             ;   in Loop: Header=BB16_81 Depth=1
	v_bfe_u32 v4, v3, 20, 1
	s_mov_b32 s9, exec_lo
	s_delay_alu instid0(VALU_DEP_1) | instskip(NEXT) | instid1(VALU_DEP_1)
	v_add3_u32 v4, v3, v4, 0x487ffff
	v_bfe_u32 v4, v4, 20, 8
	s_and_not1_saveexec_b32 s10, s10
	s_cbranch_execz .LBB16_127
.LBB16_193:                             ;   in Loop: Header=BB16_81 Depth=1
	v_add_f32_e64 v4, 0x46000000, |v3|
	s_and_not1_b32 s9, s9, exec_lo
	s_delay_alu instid0(VALU_DEP_1) | instskip(NEXT) | instid1(VALU_DEP_1)
	v_and_b32_e32 v4, 0xff, v4
	v_cmp_ne_u32_e32 vcc_lo, 0, v4
	s_and_b32 s12, vcc_lo, exec_lo
	s_delay_alu instid0(SALU_CYCLE_1)
	s_or_b32 s9, s9, s12
	s_or_b32 exec_lo, exec_lo, s10
	v_mov_b32_e32 v5, 0
	s_and_saveexec_b32 s10, s9
	s_cbranch_execnz .LBB16_128
	s_branch .LBB16_129
.LBB16_194:                             ;   in Loop: Header=BB16_81 Depth=1
	v_bfe_u32 v3, v5, 20, 1
	s_mov_b32 s10, exec_lo
	s_delay_alu instid0(VALU_DEP_1) | instskip(NEXT) | instid1(VALU_DEP_1)
	v_add3_u32 v3, v5, v3, 0x487ffff
	v_bfe_u32 v12, v3, 20, 8
	s_and_not1_saveexec_b32 s12, s12
	s_cbranch_execz .LBB16_134
.LBB16_195:                             ;   in Loop: Header=BB16_81 Depth=1
	v_add_f32_e64 v3, 0x46000000, |v5|
	s_and_not1_b32 s10, s10, exec_lo
	s_delay_alu instid0(VALU_DEP_1) | instskip(NEXT) | instid1(VALU_DEP_1)
	v_and_b32_e32 v12, 0xff, v3
	v_cmp_ne_u32_e32 vcc_lo, 0, v12
	s_and_b32 s13, vcc_lo, exec_lo
	s_delay_alu instid0(SALU_CYCLE_1)
	s_or_b32 s10, s10, s13
	s_or_b32 exec_lo, exec_lo, s12
	v_mov_b32_e32 v3, 0
	s_and_saveexec_b32 s12, s10
	s_cbranch_execnz .LBB16_135
	s_branch .LBB16_136
.LBB16_196:                             ;   in Loop: Header=BB16_81 Depth=1
	v_bfe_u32 v12, v5, 20, 1
	s_mov_b32 s10, exec_lo
	s_delay_alu instid0(VALU_DEP_1) | instskip(NEXT) | instid1(VALU_DEP_1)
	v_add3_u32 v12, v5, v12, 0x487ffff
	v_bfe_u32 v13, v12, 20, 8
	s_and_not1_saveexec_b32 s12, s12
	s_cbranch_execz .LBB16_140
.LBB16_197:                             ;   in Loop: Header=BB16_81 Depth=1
	v_add_f32_e64 v12, 0x46000000, |v5|
	s_and_not1_b32 s10, s10, exec_lo
	s_delay_alu instid0(VALU_DEP_1) | instskip(NEXT) | instid1(VALU_DEP_1)
	v_and_b32_e32 v13, 0xff, v12
	v_cmp_ne_u32_e32 vcc_lo, 0, v13
	s_and_b32 s13, vcc_lo, exec_lo
	s_delay_alu instid0(SALU_CYCLE_1)
	s_or_b32 s10, s10, s13
	s_or_b32 exec_lo, exec_lo, s12
	v_mov_b32_e32 v12, 0
	s_and_saveexec_b32 s12, s10
	s_cbranch_execnz .LBB16_141
	s_branch .LBB16_142
.LBB16_198:                             ;   in Loop: Header=BB16_81 Depth=1
	v_bfe_u32 v6, v5, 20, 1
	s_mov_b32 s10, exec_lo
	s_delay_alu instid0(VALU_DEP_1) | instskip(NEXT) | instid1(VALU_DEP_1)
	v_add3_u32 v6, v5, v6, 0x487ffff
	v_bfe_u32 v8, v6, 20, 8
	s_and_not1_saveexec_b32 s12, s12
	s_cbranch_execz .LBB16_146
.LBB16_199:                             ;   in Loop: Header=BB16_81 Depth=1
	v_add_f32_e64 v6, 0x46000000, |v5|
	s_and_not1_b32 s10, s10, exec_lo
	s_delay_alu instid0(VALU_DEP_1) | instskip(NEXT) | instid1(VALU_DEP_1)
	v_and_b32_e32 v8, 0xff, v6
	v_cmp_ne_u32_e32 vcc_lo, 0, v8
	s_and_b32 s13, vcc_lo, exec_lo
	s_delay_alu instid0(SALU_CYCLE_1)
	s_or_b32 s10, s10, s13
	s_or_b32 exec_lo, exec_lo, s12
	v_mov_b32_e32 v6, 0
	s_and_saveexec_b32 s12, s10
	s_cbranch_execnz .LBB16_147
	s_branch .LBB16_148
.LBB16_200:                             ;   in Loop: Header=BB16_81 Depth=1
	v_bfe_u32 v7, v5, 20, 1
	s_mov_b32 s10, exec_lo
	s_delay_alu instid0(VALU_DEP_1) | instskip(NEXT) | instid1(VALU_DEP_1)
	v_add3_u32 v7, v5, v7, 0x487ffff
	v_bfe_u32 v7, v7, 20, 8
	s_and_not1_saveexec_b32 s12, s12
	s_cbranch_execz .LBB16_152
.LBB16_201:                             ;   in Loop: Header=BB16_81 Depth=1
	v_add_f32_e64 v7, 0x46000000, |v5|
	s_and_not1_b32 s10, s10, exec_lo
	s_delay_alu instid0(VALU_DEP_1) | instskip(NEXT) | instid1(VALU_DEP_1)
	v_and_b32_e32 v7, 0xff, v7
	v_cmp_ne_u32_e32 vcc_lo, 0, v7
	s_and_b32 s13, vcc_lo, exec_lo
	s_delay_alu instid0(SALU_CYCLE_1)
	s_or_b32 s10, s10, s13
	s_or_b32 exec_lo, exec_lo, s12
	v_mov_b32_e32 v8, 0
	s_and_saveexec_b32 s12, s10
	s_cbranch_execnz .LBB16_153
	s_branch .LBB16_154
.LBB16_202:                             ;   in Loop: Header=BB16_81 Depth=1
	v_bfe_u32 v3, v8, 20, 1
	s_mov_b32 s12, exec_lo
	s_delay_alu instid0(VALU_DEP_1) | instskip(NEXT) | instid1(VALU_DEP_1)
	v_add3_u32 v3, v8, v3, 0x487ffff
	v_bfe_u32 v9, v3, 20, 8
	s_and_not1_saveexec_b32 s13, s13
	s_cbranch_execz .LBB16_159
.LBB16_203:                             ;   in Loop: Header=BB16_81 Depth=1
	v_add_f32_e64 v3, 0x46000000, |v8|
	s_and_not1_b32 s12, s12, exec_lo
	s_delay_alu instid0(VALU_DEP_1) | instskip(NEXT) | instid1(VALU_DEP_1)
	v_and_b32_e32 v9, 0xff, v3
	v_cmp_ne_u32_e32 vcc_lo, 0, v9
	s_and_b32 s14, vcc_lo, exec_lo
	s_delay_alu instid0(SALU_CYCLE_1)
	s_or_b32 s12, s12, s14
	s_or_b32 exec_lo, exec_lo, s13
	v_mov_b32_e32 v3, 0
	s_and_saveexec_b32 s13, s12
	s_cbranch_execnz .LBB16_160
	s_branch .LBB16_161
.LBB16_204:                             ;   in Loop: Header=BB16_81 Depth=1
	v_bfe_u32 v8, v9, 20, 1
	s_mov_b32 s12, exec_lo
	s_delay_alu instid0(VALU_DEP_1) | instskip(NEXT) | instid1(VALU_DEP_1)
	v_add3_u32 v8, v9, v8, 0x487ffff
	v_bfe_u32 v12, v8, 20, 8
	s_and_not1_saveexec_b32 s13, s13
	s_cbranch_execz .LBB16_165
.LBB16_205:                             ;   in Loop: Header=BB16_81 Depth=1
	v_add_f32_e64 v8, 0x46000000, |v9|
	s_and_not1_b32 s12, s12, exec_lo
	s_delay_alu instid0(VALU_DEP_1) | instskip(NEXT) | instid1(VALU_DEP_1)
	v_and_b32_e32 v12, 0xff, v8
	v_cmp_ne_u32_e32 vcc_lo, 0, v12
	s_and_b32 s14, vcc_lo, exec_lo
	s_delay_alu instid0(SALU_CYCLE_1)
	s_or_b32 s12, s12, s14
	s_or_b32 exec_lo, exec_lo, s13
	v_mov_b32_e32 v8, 0
	s_and_saveexec_b32 s13, s12
	s_cbranch_execnz .LBB16_166
	s_branch .LBB16_167
.LBB16_206:                             ;   in Loop: Header=BB16_81 Depth=1
	v_bfe_u32 v4, v6, 20, 1
	s_mov_b32 s12, exec_lo
	s_delay_alu instid0(VALU_DEP_1) | instskip(NEXT) | instid1(VALU_DEP_1)
	v_add3_u32 v4, v6, v4, 0x487ffff
	v_bfe_u32 v9, v4, 20, 8
	s_and_not1_saveexec_b32 s13, s13
	s_cbranch_execz .LBB16_171
.LBB16_207:                             ;   in Loop: Header=BB16_81 Depth=1
	v_add_f32_e64 v4, 0x46000000, |v6|
	s_and_not1_b32 s12, s12, exec_lo
	s_delay_alu instid0(VALU_DEP_1) | instskip(NEXT) | instid1(VALU_DEP_1)
	v_and_b32_e32 v9, 0xff, v4
	v_cmp_ne_u32_e32 vcc_lo, 0, v9
	s_and_b32 s14, vcc_lo, exec_lo
	s_delay_alu instid0(SALU_CYCLE_1)
	s_or_b32 s12, s12, s14
	s_or_b32 exec_lo, exec_lo, s13
	v_mov_b32_e32 v4, 0
	s_and_saveexec_b32 s13, s12
	s_cbranch_execnz .LBB16_172
	s_branch .LBB16_173
.LBB16_208:                             ;   in Loop: Header=BB16_81 Depth=1
	v_bfe_u32 v6, v5, 20, 1
	s_mov_b32 s12, exec_lo
	s_delay_alu instid0(VALU_DEP_1) | instskip(NEXT) | instid1(VALU_DEP_1)
	v_add3_u32 v6, v5, v6, 0x487ffff
	v_bfe_u32 v6, v6, 20, 8
	s_and_not1_saveexec_b32 s13, s13
	s_cbranch_execz .LBB16_177
.LBB16_209:                             ;   in Loop: Header=BB16_81 Depth=1
	v_add_f32_e64 v6, 0x46000000, |v5|
	s_and_not1_b32 s12, s12, exec_lo
	s_delay_alu instid0(VALU_DEP_1) | instskip(NEXT) | instid1(VALU_DEP_1)
	v_and_b32_e32 v6, 0xff, v6
	v_cmp_ne_u32_e32 vcc_lo, 0, v6
	s_and_b32 s14, vcc_lo, exec_lo
	s_delay_alu instid0(SALU_CYCLE_1)
	s_or_b32 s12, s12, s14
	s_or_b32 exec_lo, exec_lo, s13
	v_mov_b32_e32 v7, 0
	s_and_saveexec_b32 s13, s12
	s_cbranch_execz .LBB16_76
.LBB16_210:                             ;   in Loop: Header=BB16_81 Depth=1
	v_and_b32_e32 v5, 0x80000000, v5
	s_delay_alu instid0(VALU_DEP_1)
	v_lshl_or_b32 v7, v6, 24, v5
	s_branch .LBB16_76
.LBB16_211:
	s_endpgm
	.section	.rodata,"a",@progbits
	.p2align	6, 0x0
	.amdhsa_kernel _ZN4vllm39rms_norm_dynamic_per_token_quant_kernelIN3c108BFloat16ENS1_15Float8_e4m3fnuzELb0EEEvPT0_PfPKT_S9_PKffiPS7_
		.amdhsa_group_segment_fixed_size 272
		.amdhsa_private_segment_fixed_size 0
		.amdhsa_kernarg_size 312
		.amdhsa_user_sgpr_count 2
		.amdhsa_user_sgpr_dispatch_ptr 0
		.amdhsa_user_sgpr_queue_ptr 0
		.amdhsa_user_sgpr_kernarg_segment_ptr 1
		.amdhsa_user_sgpr_dispatch_id 0
		.amdhsa_user_sgpr_kernarg_preload_length 0
		.amdhsa_user_sgpr_kernarg_preload_offset 0
		.amdhsa_user_sgpr_private_segment_size 0
		.amdhsa_wavefront_size32 1
		.amdhsa_uses_dynamic_stack 0
		.amdhsa_enable_private_segment 0
		.amdhsa_system_sgpr_workgroup_id_x 1
		.amdhsa_system_sgpr_workgroup_id_y 0
		.amdhsa_system_sgpr_workgroup_id_z 0
		.amdhsa_system_sgpr_workgroup_info 0
		.amdhsa_system_vgpr_workitem_id 0
		.amdhsa_next_free_vgpr 24
		.amdhsa_next_free_sgpr 37
		.amdhsa_named_barrier_count 0
		.amdhsa_reserve_vcc 1
		.amdhsa_float_round_mode_32 0
		.amdhsa_float_round_mode_16_64 0
		.amdhsa_float_denorm_mode_32 3
		.amdhsa_float_denorm_mode_16_64 3
		.amdhsa_fp16_overflow 0
		.amdhsa_memory_ordered 1
		.amdhsa_forward_progress 1
		.amdhsa_inst_pref_size 124
		.amdhsa_round_robin_scheduling 0
		.amdhsa_exception_fp_ieee_invalid_op 0
		.amdhsa_exception_fp_denorm_src 0
		.amdhsa_exception_fp_ieee_div_zero 0
		.amdhsa_exception_fp_ieee_overflow 0
		.amdhsa_exception_fp_ieee_underflow 0
		.amdhsa_exception_fp_ieee_inexact 0
		.amdhsa_exception_int_div_zero 0
	.end_amdhsa_kernel
	.section	.text._ZN4vllm39rms_norm_dynamic_per_token_quant_kernelIN3c108BFloat16ENS1_15Float8_e4m3fnuzELb0EEEvPT0_PfPKT_S9_PKffiPS7_,"axG",@progbits,_ZN4vllm39rms_norm_dynamic_per_token_quant_kernelIN3c108BFloat16ENS1_15Float8_e4m3fnuzELb0EEEvPT0_PfPKT_S9_PKffiPS7_,comdat
.Lfunc_end16:
	.size	_ZN4vllm39rms_norm_dynamic_per_token_quant_kernelIN3c108BFloat16ENS1_15Float8_e4m3fnuzELb0EEEvPT0_PfPKT_S9_PKffiPS7_, .Lfunc_end16-_ZN4vllm39rms_norm_dynamic_per_token_quant_kernelIN3c108BFloat16ENS1_15Float8_e4m3fnuzELb0EEEvPT0_PfPKT_S9_PKffiPS7_
                                        ; -- End function
	.set _ZN4vllm39rms_norm_dynamic_per_token_quant_kernelIN3c108BFloat16ENS1_15Float8_e4m3fnuzELb0EEEvPT0_PfPKT_S9_PKffiPS7_.num_vgpr, 24
	.set _ZN4vllm39rms_norm_dynamic_per_token_quant_kernelIN3c108BFloat16ENS1_15Float8_e4m3fnuzELb0EEEvPT0_PfPKT_S9_PKffiPS7_.num_agpr, 0
	.set _ZN4vllm39rms_norm_dynamic_per_token_quant_kernelIN3c108BFloat16ENS1_15Float8_e4m3fnuzELb0EEEvPT0_PfPKT_S9_PKffiPS7_.numbered_sgpr, 37
	.set _ZN4vllm39rms_norm_dynamic_per_token_quant_kernelIN3c108BFloat16ENS1_15Float8_e4m3fnuzELb0EEEvPT0_PfPKT_S9_PKffiPS7_.num_named_barrier, 0
	.set _ZN4vllm39rms_norm_dynamic_per_token_quant_kernelIN3c108BFloat16ENS1_15Float8_e4m3fnuzELb0EEEvPT0_PfPKT_S9_PKffiPS7_.private_seg_size, 0
	.set _ZN4vllm39rms_norm_dynamic_per_token_quant_kernelIN3c108BFloat16ENS1_15Float8_e4m3fnuzELb0EEEvPT0_PfPKT_S9_PKffiPS7_.uses_vcc, 1
	.set _ZN4vllm39rms_norm_dynamic_per_token_quant_kernelIN3c108BFloat16ENS1_15Float8_e4m3fnuzELb0EEEvPT0_PfPKT_S9_PKffiPS7_.uses_flat_scratch, 0
	.set _ZN4vllm39rms_norm_dynamic_per_token_quant_kernelIN3c108BFloat16ENS1_15Float8_e4m3fnuzELb0EEEvPT0_PfPKT_S9_PKffiPS7_.has_dyn_sized_stack, 0
	.set _ZN4vllm39rms_norm_dynamic_per_token_quant_kernelIN3c108BFloat16ENS1_15Float8_e4m3fnuzELb0EEEvPT0_PfPKT_S9_PKffiPS7_.has_recursion, 0
	.set _ZN4vllm39rms_norm_dynamic_per_token_quant_kernelIN3c108BFloat16ENS1_15Float8_e4m3fnuzELb0EEEvPT0_PfPKT_S9_PKffiPS7_.has_indirect_call, 0
	.section	.AMDGPU.csdata,"",@progbits
; Kernel info:
; codeLenInByte = 15852
; TotalNumSgprs: 39
; NumVgprs: 24
; ScratchSize: 0
; MemoryBound: 0
; FloatMode: 240
; IeeeMode: 1
; LDSByteSize: 272 bytes/workgroup (compile time only)
; SGPRBlocks: 0
; VGPRBlocks: 1
; NumSGPRsForWavesPerEU: 39
; NumVGPRsForWavesPerEU: 24
; NamedBarCnt: 0
; Occupancy: 16
; WaveLimiterHint : 0
; COMPUTE_PGM_RSRC2:SCRATCH_EN: 0
; COMPUTE_PGM_RSRC2:USER_SGPR: 2
; COMPUTE_PGM_RSRC2:TRAP_HANDLER: 0
; COMPUTE_PGM_RSRC2:TGID_X_EN: 1
; COMPUTE_PGM_RSRC2:TGID_Y_EN: 0
; COMPUTE_PGM_RSRC2:TGID_Z_EN: 0
; COMPUTE_PGM_RSRC2:TIDIG_COMP_CNT: 0
	.section	.text._ZN4vllm39rms_norm_dynamic_per_token_quant_kernelIN3c108BFloat16EaLb0EEEvPT0_PfPKT_S8_PKffiPS6_,"axG",@progbits,_ZN4vllm39rms_norm_dynamic_per_token_quant_kernelIN3c108BFloat16EaLb0EEEvPT0_PfPKT_S8_PKffiPS6_,comdat
	.protected	_ZN4vllm39rms_norm_dynamic_per_token_quant_kernelIN3c108BFloat16EaLb0EEEvPT0_PfPKT_S8_PKffiPS6_ ; -- Begin function _ZN4vllm39rms_norm_dynamic_per_token_quant_kernelIN3c108BFloat16EaLb0EEEvPT0_PfPKT_S8_PKffiPS6_
	.globl	_ZN4vllm39rms_norm_dynamic_per_token_quant_kernelIN3c108BFloat16EaLb0EEEvPT0_PfPKT_S8_PKffiPS6_
	.p2align	8
	.type	_ZN4vllm39rms_norm_dynamic_per_token_quant_kernelIN3c108BFloat16EaLb0EEEvPT0_PfPKT_S8_PKffiPS6_,@function
_ZN4vllm39rms_norm_dynamic_per_token_quant_kernelIN3c108BFloat16EaLb0EEEvPT0_PfPKT_S8_PKffiPS6_: ; @_ZN4vllm39rms_norm_dynamic_per_token_quant_kernelIN3c108BFloat16EaLb0EEEvPT0_PfPKT_S8_PKffiPS6_
; %bb.0:
	s_clause 0x1
	s_load_b128 s[20:23], s[0:1], 0x20
	s_load_b256 s[12:19], s[0:1], 0x0
	s_getreg_b32 s26, hwreg(HW_REG_IB_STS2, 6, 4)
	s_wait_kmcnt 0x0
	s_and_b32 s2, s23, 3
	s_delay_alu instid0(SALU_CYCLE_1)
	s_cmp_lg_u32 s2, 0
	s_cbranch_scc0 .LBB17_31
; %bb.1:
	s_bfe_u32 s2, ttmp6, 0x4000c
	s_and_b32 s3, ttmp6, 15
	s_add_co_i32 s2, s2, 1
	v_cmp_le_u32_e64 s5, s23, v0
	s_mul_i32 s4, ttmp9, s2
	v_cmp_gt_u32_e64 s2, s23, v0
	s_add_co_i32 s3, s3, s4
	s_cmp_eq_u32 s26, 0
                                        ; implicit-def: $sgpr6_sgpr7
	s_cselect_b32 s24, ttmp9, s3
	s_and_saveexec_b32 s3, s5
	s_delay_alu instid0(SALU_CYCLE_1)
	s_xor_b32 s3, exec_lo, s3
; %bb.2:
	s_add_nc_u64 s[6:7], s[0:1], 56
; %bb.3:
	s_or_saveexec_b32 s3, s3
	v_mov_b64_e32 v[2:3], s[6:7]
	v_mov_b32_e32 v4, 0
	s_xor_b32 exec_lo, exec_lo, s3
	s_cbranch_execz .LBB17_7
; %bb.4:
	s_load_b32 s4, s[0:1], 0x44
	s_ashr_i32 s7, s23, 31
	s_mov_b32 s6, s23
	s_mov_b32 s25, 0
	v_dual_mov_b32 v4, 0 :: v_dual_mov_b32 v1, v0
	s_mul_u64 s[6:7], s[6:7], s[24:25]
	s_delay_alu instid0(SALU_CYCLE_1) | instskip(NEXT) | instid1(SALU_CYCLE_1)
	s_lshl_b64 s[6:7], s[6:7], 1
	s_add_nc_u64 s[8:9], s[16:17], s[6:7]
	s_add_nc_u64 s[6:7], s[0:1], 56
	s_wait_kmcnt 0x0
	s_and_b32 s4, s4, 0xffff
.LBB17_5:                               ; =>This Inner Loop Header: Depth=1
	global_load_u16 v2, v1, s[8:9] scale_offset
	s_wait_xcnt 0x0
	v_add_nc_u32_e32 v1, s4, v1
	s_delay_alu instid0(VALU_DEP_1)
	v_cmp_le_u32_e32 vcc_lo, s23, v1
	s_or_b32 s25, vcc_lo, s25
	s_wait_loadcnt 0x0
	v_fma_mix_f32_bf16 v4, v2, v2, v4 op_sel_hi:[1,1,0]
	s_and_not1_b32 exec_lo, exec_lo, s25
	s_cbranch_execnz .LBB17_5
; %bb.6:
	s_or_b32 exec_lo, exec_lo, s25
	v_mov_b64_e32 v[2:3], s[6:7]
.LBB17_7:
	s_or_b32 exec_lo, exec_lo, s3
	global_load_b32 v1, v[2:3], off
	v_mov_b32_e32 v7, 0
	v_and_b32_e32 v10, 0x3c0, v0
	s_wait_loadcnt 0x0
	v_cmp_lt_u32_e32 vcc_lo, s24, v1
	v_mbcnt_lo_u32_b32 v1, -1, 0
	v_cndmask_b32_e64 v6, 18, 12, vcc_lo
	s_delay_alu instid0(VALU_DEP_2) | instskip(SKIP_2) | instid1(VALU_DEP_4)
	v_cmp_ne_u32_e32 vcc_lo, 63, v1
	v_cmp_eq_u32_e64 s3, 0, v1
	v_dual_add_nc_u32 v13, 2, v1 :: v_dual_add_nc_u32 v15, 4, v1
	v_add_nc_u64_e32 v[2:3], v[2:3], v[6:7]
	v_dual_add_nc_u32 v18, 8, v1 :: v_dual_add_nc_u32 v17, 16, v1
	v_dual_lshlrev_b32 v7, 2, v1 :: v_dual_bitop2_b32 v19, 32, v1 bitop3:0x54
	global_load_u16 v2, v[2:3], off
	s_wait_xcnt 0x0
	v_add_co_ci_u32_e64 v3, null, 0, v1, vcc_lo
	v_cmp_gt_u32_e32 vcc_lo, 62, v1
	s_delay_alu instid0(VALU_DEP_2)
	v_lshlrev_b32_e32 v9, 2, v3
	v_cndmask_b32_e64 v5, 0, 2, vcc_lo
	ds_bpermute_b32 v3, v9, v4
	v_add_nc_u32_e32 v8, 1, v1
	v_add_lshl_u32 v11, v5, v1, 2
	s_wait_dscnt 0x0
	v_add_f32_e32 v3, v4, v3
	s_wait_loadcnt 0x0
	v_sub_nc_u32_e64 v6, v2, v10 clamp
	s_delay_alu instid0(VALU_DEP_1) | instskip(NEXT) | instid1(VALU_DEP_3)
	v_cmp_lt_u32_e32 vcc_lo, v8, v6
	v_cndmask_b32_e32 v3, v4, v3, vcc_lo
	v_cmp_gt_u32_e32 vcc_lo, 60, v1
	ds_bpermute_b32 v4, v11, v3
	v_cndmask_b32_e64 v5, 0, 4, vcc_lo
	v_cmp_lt_u32_e32 vcc_lo, v13, v6
	s_delay_alu instid0(VALU_DEP_2) | instskip(SKIP_2) | instid1(VALU_DEP_1)
	v_add_lshl_u32 v12, v5, v1, 2
	s_wait_dscnt 0x0
	v_add_f32_e32 v4, v3, v4
	v_cndmask_b32_e32 v3, v3, v4, vcc_lo
	v_cmp_gt_u32_e32 vcc_lo, 56, v1
	ds_bpermute_b32 v4, v12, v3
	v_cndmask_b32_e64 v5, 0, 8, vcc_lo
	v_cmp_lt_u32_e32 vcc_lo, v15, v6
	s_delay_alu instid0(VALU_DEP_2) | instskip(SKIP_2) | instid1(VALU_DEP_1)
	v_add_lshl_u32 v14, v5, v1, 2
	s_wait_dscnt 0x0
	v_add_f32_e32 v4, v3, v4
	;; [unrolled: 9-line block ×3, first 2 shown]
	v_cndmask_b32_e32 v3, v3, v4, vcc_lo
	v_cmp_lt_u32_e32 vcc_lo, v17, v6
	ds_bpermute_b32 v4, v16, v3
	s_wait_dscnt 0x0
	v_add_f32_e32 v4, v3, v4
	s_delay_alu instid0(VALU_DEP_1) | instskip(SKIP_4) | instid1(VALU_DEP_1)
	v_cndmask_b32_e32 v3, v3, v4, vcc_lo
	v_cmp_lt_u32_e32 vcc_lo, v19, v6
	ds_bpermute_b32 v4, v7, v3 offset:128
	s_wait_dscnt 0x0
	v_add_f32_e32 v4, v3, v4
	v_cndmask_b32_e32 v3, v3, v4, vcc_lo
	s_and_saveexec_b32 s4, s3
; %bb.8:
	v_lshrrev_b32_e32 v4, 4, v0
	s_delay_alu instid0(VALU_DEP_1)
	v_and_b32_e32 v4, 60, v4
	ds_store_b32 v4, v3 offset:128
; %bb.9:
	s_or_b32 exec_lo, exec_lo, s4
	v_cmp_gt_u32_e64 s4, 16, v0
	v_and_b32_e32 v5, 15, v1
	v_or_b32_e32 v6, 32, v7
	s_wait_dscnt 0x0
	s_barrier_signal -1
	s_barrier_wait -1
	s_and_saveexec_b32 s7, s4
	s_cbranch_execz .LBB17_11
; %bb.10:
	ds_load_b32 v3, v7 offset:128
	v_cmp_ne_u32_e32 vcc_lo, 15, v5
	v_cmp_gt_u32_e64 s6, 12, v5
	v_dual_add_nc_u32 v2, 63, v2 :: v_dual_add_nc_u32 v20, 1, v5
	v_add_co_ci_u32_e64 v4, null, 0, v1, vcc_lo
	v_cmp_gt_u32_e32 vcc_lo, 14, v5
	s_delay_alu instid0(VALU_DEP_4) | instskip(NEXT) | instid1(VALU_DEP_3)
	v_cndmask_b32_e64 v22, 0, 4, s6
	v_dual_lshrrev_b32 v2, 6, v2 :: v_dual_lshlrev_b32 v4, 2, v4
	v_cndmask_b32_e64 v21, 0, 2, vcc_lo
	s_delay_alu instid0(VALU_DEP_2) | instskip(NEXT) | instid1(VALU_DEP_2)
	v_cmp_lt_u32_e32 vcc_lo, v20, v2
	v_add_lshl_u32 v21, v21, v1, 2
	s_wait_dscnt 0x0
	ds_bpermute_b32 v4, v4, v3
	s_wait_dscnt 0x0
	v_add_f32_e32 v4, v3, v4
	s_delay_alu instid0(VALU_DEP_1) | instskip(SKIP_2) | instid1(VALU_DEP_1)
	v_cndmask_b32_e32 v4, v3, v4, vcc_lo
	ds_bpermute_b32 v20, v21, v4
	v_add_nc_u32_e32 v21, 2, v5
	v_cmp_lt_u32_e64 s6, v21, v2
	s_wait_dscnt 0x0
	v_dual_add_f32 v20, v4, v20 :: v_dual_add_nc_u32 v21, 4, v5
	s_delay_alu instid0(VALU_DEP_1) | instskip(SKIP_1) | instid1(VALU_DEP_3)
	v_cndmask_b32_e64 v4, v4, v20, s6
	v_add_lshl_u32 v20, v22, v1, 2
	v_cmp_lt_u32_e64 s6, v21, v2
	v_add_nc_u32_e32 v21, 8, v5
	ds_bpermute_b32 v20, v20, v4
	s_wait_dscnt 0x0
	v_add_f32_e32 v20, v4, v20
	s_delay_alu instid0(VALU_DEP_1) | instskip(SKIP_4) | instid1(VALU_DEP_1)
	v_cndmask_b32_e64 v4, v4, v20, s6
	v_cmp_lt_u32_e64 s6, v21, v2
	ds_bpermute_b32 v20, v6, v4
	s_wait_dscnt 0x0
	v_add_f32_e32 v20, v4, v20
	v_cndmask_b32_e64 v2, v4, v20, s6
	s_delay_alu instid0(VALU_DEP_1)
	v_cndmask_b32_e32 v3, v3, v2, vcc_lo
.LBB17_11:
	s_or_b32 exec_lo, exec_lo, s7
	v_cmp_eq_u32_e64 s6, 0, v0
	s_mov_b32 s25, 0
	s_and_saveexec_b32 s7, s6
	s_cbranch_execz .LBB17_13
; %bb.12:
	s_cvt_f32_i32 s8, s23
	s_delay_alu instid0(SALU_CYCLE_3) | instskip(SKIP_1) | instid1(VALU_DEP_2)
	v_div_scale_f32 v2, null, s8, s8, v3
	v_div_scale_f32 v21, vcc_lo, v3, s8, v3
	v_rcp_f32_e32 v4, v2
	v_nop
	s_delay_alu instid0(TRANS32_DEP_1) | instskip(NEXT) | instid1(VALU_DEP_1)
	v_fma_f32 v20, -v2, v4, 1.0
	v_fmac_f32_e32 v4, v20, v4
	s_delay_alu instid0(VALU_DEP_1) | instskip(NEXT) | instid1(VALU_DEP_1)
	v_mul_f32_e32 v20, v21, v4
	v_fma_f32 v22, -v2, v20, v21
	s_delay_alu instid0(VALU_DEP_1) | instskip(NEXT) | instid1(VALU_DEP_1)
	v_fmac_f32_e32 v20, v22, v4
	v_fma_f32 v2, -v2, v20, v21
	s_delay_alu instid0(VALU_DEP_1) | instskip(NEXT) | instid1(VALU_DEP_1)
	v_div_fmas_f32 v2, v2, v4, v20
	v_div_fixup_f32 v2, v2, s8, v3
	s_delay_alu instid0(VALU_DEP_1) | instskip(NEXT) | instid1(VALU_DEP_1)
	v_add_f32_e32 v2, s22, v2
	v_mul_f32_e32 v3, 0x4b800000, v2
	v_cmp_gt_f32_e32 vcc_lo, 0x800000, v2
	s_delay_alu instid0(VALU_DEP_2) | instskip(NEXT) | instid1(VALU_DEP_1)
	v_cndmask_b32_e32 v2, v2, v3, vcc_lo
	v_rsq_f32_e32 v2, v2
	v_nop
	s_delay_alu instid0(TRANS32_DEP_1) | instskip(NEXT) | instid1(VALU_DEP_1)
	v_mul_f32_e32 v3, 0x45800000, v2
	v_dual_cndmask_b32 v2, v2, v3 :: v_dual_mov_b32 v3, 0
	ds_store_b32 v3, v2 offset:264
.LBB17_13:
	s_or_b32 exec_lo, exec_lo, s7
	v_mov_b32_e32 v20, 0
	s_wait_dscnt 0x0
	s_barrier_signal -1
	s_barrier_wait -1
	ds_load_b32 v4, v20 offset:264
                                        ; implicit-def: $sgpr8_sgpr9
	s_and_saveexec_b32 s7, s5
	s_delay_alu instid0(SALU_CYCLE_1)
	s_xor_b32 s5, exec_lo, s7
; %bb.14:
	s_add_nc_u64 s[8:9], s[0:1], 56
; %bb.15:
	s_or_saveexec_b32 s7, s5
	v_mov_b64_e32 v[2:3], s[8:9]
	s_xor_b32 exec_lo, exec_lo, s7
	s_cbranch_execz .LBB17_19
; %bb.16:
	s_load_b32 s5, s[0:1], 0x44
	s_ashr_i32 s11, s23, 31
	s_mov_b32 s10, s23
	v_dual_mov_b32 v20, 0 :: v_dual_mov_b32 v2, v0
	s_mul_u64 s[10:11], s[10:11], s[24:25]
	s_add_nc_u64 s[8:9], s[0:1], 56
	s_lshl_b64 s[10:11], s[10:11], 1
	s_mov_b32 s27, 0
	s_add_nc_u64 s[10:11], s[16:17], s[10:11]
	s_wait_kmcnt 0x0
	s_and_b32 s28, s5, 0xffff
.LBB17_17:                              ; =>This Inner Loop Header: Depth=1
	s_clause 0x1
	global_load_u16 v3, v2, s[10:11] scale_offset
	global_load_u16 v21, v2, s[18:19] scale_offset
	s_wait_loadcnt 0x1
	s_wait_xcnt 0x0
	v_dual_add_nc_u32 v2, s28, v2 :: v_dual_lshlrev_b32 v3, 16, v3
	s_wait_loadcnt_dscnt 0x0
	s_delay_alu instid0(VALU_DEP_1) | instskip(NEXT) | instid1(VALU_DEP_1)
	v_dual_lshlrev_b32 v21, 16, v21 :: v_dual_mul_f32 v3, v4, v3
	v_bfe_u32 v22, v3, 16, 1
	v_cmp_o_f32_e32 vcc_lo, v3, v3
	s_delay_alu instid0(VALU_DEP_2) | instskip(NEXT) | instid1(VALU_DEP_1)
	v_add3_u32 v22, v3, v22, 0x7fff
	v_and_b32_e32 v22, 0xffff0000, v22
	s_delay_alu instid0(VALU_DEP_1) | instskip(SKIP_1) | instid1(VALU_DEP_2)
	v_dual_cndmask_b32 v3, 0x7fc00000, v22 :: v_dual_max_num_f32 v22, v20, v20
	v_cmp_le_u32_e32 vcc_lo, s23, v2
	v_mul_f32_e32 v3, v3, v21
	s_or_b32 s27, vcc_lo, s27
	s_delay_alu instid0(VALU_DEP_1) | instskip(NEXT) | instid1(VALU_DEP_1)
	v_bfe_u32 v21, v3, 16, 1
	v_add3_u32 v21, v3, v21, 0x7fff
	s_delay_alu instid0(VALU_DEP_1) | instskip(NEXT) | instid1(VALU_DEP_1)
	v_and_b32_e32 v21, 0xffff0000, v21
	v_max_num_f32_e64 v21, |v21|, |v21|
	s_delay_alu instid0(VALU_DEP_1) | instskip(SKIP_1) | instid1(VALU_DEP_1)
	v_max_num_f32_e32 v21, v22, v21
	v_cmp_u_f32_e64 s5, v3, v3
	v_cndmask_b32_e64 v20, v21, v20, s5
	s_and_not1_b32 exec_lo, exec_lo, s27
	s_cbranch_execnz .LBB17_17
; %bb.18:
	s_or_b32 exec_lo, exec_lo, s27
	v_mov_b64_e32 v[2:3], s[8:9]
.LBB17_19:
	s_or_b32 exec_lo, exec_lo, s7
	global_load_b32 v22, v[2:3], off
	v_mov_b32_e32 v23, 0
	v_or_b32_e32 v21, 0x80, v7
	s_wait_loadcnt 0x0
	v_cmp_lt_u32_e32 vcc_lo, s24, v22
	v_cndmask_b32_e64 v22, 18, 12, vcc_lo
	s_delay_alu instid0(VALU_DEP_1)
	v_add_nc_u64_e32 v[2:3], v[2:3], v[22:23]
	global_load_u16 v2, v[2:3], off
	s_wait_xcnt 0x0
	ds_bpermute_b32 v3, v9, v20
	s_wait_dscnt 0x0
	v_cmp_lt_f32_e32 vcc_lo, v20, v3
	v_cndmask_b32_e32 v3, v20, v3, vcc_lo
	s_wait_loadcnt 0x0
	v_sub_nc_u32_e64 v9, v2, v10 clamp
	s_delay_alu instid0(VALU_DEP_1)
	v_cmp_lt_u32_e32 vcc_lo, v8, v9
	v_cmp_lt_u32_e64 s10, v19, v9
	v_cndmask_b32_e32 v3, v20, v3, vcc_lo
	ds_bpermute_b32 v8, v11, v3
	s_wait_dscnt 0x0
	v_cmp_lt_f32_e64 s5, v3, v8
	s_delay_alu instid0(VALU_DEP_1) | instskip(SKIP_1) | instid1(VALU_DEP_1)
	v_cndmask_b32_e64 v8, v3, v8, s5
	v_cmp_lt_u32_e64 s5, v13, v9
	v_cndmask_b32_e64 v3, v3, v8, s5
	s_or_b32 s5, vcc_lo, s5
	ds_bpermute_b32 v8, v12, v3
	s_wait_dscnt 0x0
	v_cmp_lt_f32_e64 s7, v3, v8
	s_delay_alu instid0(VALU_DEP_1) | instskip(SKIP_1) | instid1(VALU_DEP_1)
	v_cndmask_b32_e64 v8, v3, v8, s7
	v_cmp_lt_u32_e64 s7, v15, v9
	v_cndmask_b32_e64 v3, v3, v8, s7
	s_or_b32 s5, s7, s5
	ds_bpermute_b32 v8, v14, v3
	s_wait_dscnt 0x0
	v_cmp_lt_f32_e64 s8, v3, v8
	s_delay_alu instid0(VALU_DEP_1) | instskip(SKIP_1) | instid1(VALU_DEP_1)
	v_cndmask_b32_e64 v8, v3, v8, s8
	v_cmp_lt_u32_e64 s8, v18, v9
	v_cndmask_b32_e64 v3, v3, v8, s8
	s_or_b32 s5, s8, s5
	;; [unrolled: 8-line block ×3, first 2 shown]
	ds_bpermute_b32 v8, v21, v3
	s_wait_dscnt 0x0
	v_cmp_lt_f32_e32 vcc_lo, v3, v8
	s_and_b32 vcc_lo, s10, vcc_lo
	v_cndmask_b32_e32 v3, v3, v8, vcc_lo
	s_or_b32 vcc_lo, s10, s5
	s_delay_alu instid0(VALU_DEP_1)
	v_cndmask_b32_e32 v3, v20, v3, vcc_lo
	s_and_saveexec_b32 s5, s3
; %bb.20:
	v_lshrrev_b32_e32 v8, 4, v0
	s_delay_alu instid0(VALU_DEP_1)
	v_and_b32_e32 v8, 60, v8
	ds_store_b32 v8, v3 offset:192
; %bb.21:
	s_or_b32 exec_lo, exec_lo, s5
	s_wait_dscnt 0x0
	s_barrier_signal -1
	s_barrier_wait -1
	s_and_saveexec_b32 s5, s4
	s_cbranch_execz .LBB17_23
; %bb.22:
	ds_load_b32 v3, v7 offset:192
	v_cmp_ne_u32_e32 vcc_lo, 15, v5
	v_cmp_gt_u32_e64 s3, 12, v5
	v_dual_add_nc_u32 v2, 63, v2 :: v_dual_add_nc_u32 v8, 1, v5
	v_add_co_ci_u32_e64 v7, null, 0, v1, vcc_lo
	v_cmp_gt_u32_e32 vcc_lo, 14, v5
	s_delay_alu instid0(VALU_DEP_4) | instskip(NEXT) | instid1(VALU_DEP_3)
	v_cndmask_b32_e64 v10, 0, 4, s3
	v_dual_lshrrev_b32 v2, 6, v2 :: v_dual_lshlrev_b32 v7, 2, v7
	v_cndmask_b32_e64 v9, 0, 2, vcc_lo
	s_delay_alu instid0(VALU_DEP_1) | instskip(NEXT) | instid1(VALU_DEP_4)
	v_add_lshl_u32 v9, v9, v1, 2
	v_add_lshl_u32 v1, v10, v1, 2
	s_wait_dscnt 0x0
	ds_bpermute_b32 v7, v7, v3
	s_wait_dscnt 0x0
	v_cmp_lt_f32_e32 vcc_lo, v3, v7
	v_cndmask_b32_e32 v7, v3, v7, vcc_lo
	v_cmp_lt_u32_e32 vcc_lo, v8, v2
	s_delay_alu instid0(VALU_DEP_2) | instskip(SKIP_4) | instid1(VALU_DEP_1)
	v_cndmask_b32_e32 v7, v3, v7, vcc_lo
	ds_bpermute_b32 v8, v9, v7
	v_add_nc_u32_e32 v9, 2, v5
	s_wait_dscnt 0x0
	v_cmp_lt_f32_e64 s3, v7, v8
	v_cndmask_b32_e64 v8, v7, v8, s3
	s_delay_alu instid0(VALU_DEP_3) | instskip(NEXT) | instid1(VALU_DEP_1)
	v_cmp_lt_u32_e64 s3, v9, v2
	v_dual_cndmask_b32 v7, v7, v8, s3 :: v_dual_add_nc_u32 v8, 4, v5
	v_add_nc_u32_e32 v5, 8, v5
	ds_bpermute_b32 v1, v1, v7
	s_wait_dscnt 0x0
	v_cmp_lt_f32_e64 s3, v7, v1
	s_delay_alu instid0(VALU_DEP_1) | instskip(SKIP_1) | instid1(VALU_DEP_1)
	v_cndmask_b32_e64 v1, v7, v1, s3
	v_cmp_lt_u32_e64 s3, v8, v2
	v_cndmask_b32_e64 v1, v7, v1, s3
	v_cmp_lt_u32_e64 s3, v5, v2
	ds_bpermute_b32 v6, v6, v1
	s_wait_dscnt 0x0
	v_cmp_lt_f32_e64 s4, v1, v6
	s_and_b32 s3, s3, s4
	s_delay_alu instid0(SALU_CYCLE_1) | instskip(NEXT) | instid1(VALU_DEP_1)
	v_cndmask_b32_e64 v1, v1, v6, s3
	v_cndmask_b32_e32 v3, v3, v1, vcc_lo
.LBB17_23:
	s_or_b32 exec_lo, exec_lo, s5
	s_and_saveexec_b32 s3, s6
	s_cbranch_execz .LBB17_27
; %bb.24:
	s_cmp_eq_u64 s[20:21], 0
	s_cbranch_scc1 .LBB17_26
; %bb.25:
	s_load_b32 s4, s[20:21], 0x0
	v_max_num_f32_e32 v1, v3, v3
	s_wait_kmcnt 0x0
	v_max_num_f32_e64 v2, s4, s4
	s_delay_alu instid0(VALU_DEP_1)
	v_min_num_f32_e32 v3, v1, v2
.LBB17_26:
	s_delay_alu instid0(VALU_DEP_1)
	v_div_scale_f32 v1, null, 0x42fe0000, 0x42fe0000, v3
	v_div_scale_f32 v6, vcc_lo, v3, 0x42fe0000, v3
	s_lshl_b64 s[4:5], s[24:25], 2
	v_rcp_f32_e32 v2, v1
	s_add_nc_u64 s[4:5], s[14:15], s[4:5]
	v_nop
	s_delay_alu instid0(TRANS32_DEP_1) | instskip(NEXT) | instid1(VALU_DEP_1)
	v_fma_f32 v5, -v1, v2, 1.0
	v_fmac_f32_e32 v2, v5, v2
	s_delay_alu instid0(VALU_DEP_1) | instskip(NEXT) | instid1(VALU_DEP_1)
	v_mul_f32_e32 v5, v6, v2
	v_fma_f32 v7, -v1, v5, v6
	s_delay_alu instid0(VALU_DEP_1) | instskip(NEXT) | instid1(VALU_DEP_1)
	v_fmac_f32_e32 v5, v7, v2
	v_fma_f32 v1, -v1, v5, v6
	s_delay_alu instid0(VALU_DEP_1) | instskip(SKIP_1) | instid1(VALU_DEP_2)
	v_div_fmas_f32 v1, v1, v2, v5
	v_mov_b32_e32 v2, 0
	v_div_fixup_f32 v1, v1, 0x42fe0000, v3
	s_delay_alu instid0(VALU_DEP_1)
	v_max_num_f32_e32 v1, 0x34000000, v1
	ds_store_b32 v2, v1 offset:268
	global_store_b32 v2, v1, s[4:5]
.LBB17_27:
	s_wait_xcnt 0x0
	s_or_b32 exec_lo, exec_lo, s3
	s_wait_storecnt_dscnt 0x0
	s_barrier_signal -1
	s_barrier_wait -1
	s_and_saveexec_b32 s4, s2
	s_cbranch_execz .LBB17_30
; %bb.28:
	v_mov_b32_e32 v3, 0
	s_load_b32 s5, s[0:1], 0x44
	s_ashr_i32 s3, s23, 31
	s_mov_b32 s2, s23
	s_mov_b32 s6, 0
	ds_load_b32 v1, v3 offset:268
	s_mul_u64 s[2:3], s[2:3], s[24:25]
	s_wait_kmcnt 0x0
	s_and_b32 s5, s5, 0xffff
	s_wait_dscnt 0x0
	v_div_scale_f32 v2, null, v1, v1, 1.0
	v_div_scale_f32 v7, vcc_lo, 1.0, v1, 1.0
	s_delay_alu instid0(VALU_DEP_2)
	v_rcp_f32_e32 v5, v2
	v_nop
	v_xor_b32_e32 v2, 0x80000000, v2
	s_delay_alu instid0(TRANS32_DEP_1) | instid1(VALU_DEP_1)
	v_fma_f32 v6, v2, v5, 1.0
	s_delay_alu instid0(VALU_DEP_1) | instskip(NEXT) | instid1(VALU_DEP_1)
	v_fmac_f32_e32 v5, v6, v5
	v_mul_f32_e32 v6, v7, v5
	s_delay_alu instid0(VALU_DEP_1) | instskip(NEXT) | instid1(VALU_DEP_1)
	v_fma_f32 v8, v2, v6, v7
	v_fmac_f32_e32 v6, v8, v5
	s_delay_alu instid0(VALU_DEP_1) | instskip(NEXT) | instid1(VALU_DEP_1)
	v_fmac_f32_e32 v7, v2, v6
	v_div_fmas_f32 v2, v7, v5, v6
	s_delay_alu instid0(VALU_DEP_1)
	v_div_fixup_f32 v1, v2, v1, 1.0
	v_mov_b32_e32 v2, v0
.LBB17_29:                              ; =>This Inner Loop Header: Depth=1
	s_delay_alu instid0(VALU_DEP_1) | instskip(NEXT) | instid1(VALU_DEP_1)
	v_add_nc_u64_e32 v[6:7], s[2:3], v[2:3]
	v_lshl_add_u64 v[8:9], v[6:7], 1, s[16:17]
	v_add_nc_u64_e32 v[6:7], s[12:13], v[6:7]
	global_load_u16 v5, v[8:9], off
	global_load_u16 v10, v2, s[18:19] scale_offset
	s_wait_loadcnt 0x1
	s_wait_xcnt 0x0
	v_dual_add_nc_u32 v2, s5, v2 :: v_dual_lshlrev_b32 v5, 16, v5
	s_wait_loadcnt 0x0
	s_delay_alu instid0(VALU_DEP_1) | instskip(NEXT) | instid1(VALU_DEP_1)
	v_dual_lshlrev_b32 v9, 16, v10 :: v_dual_mul_f32 v5, v4, v5
	v_bfe_u32 v8, v5, 16, 1
	v_cmp_o_f32_e32 vcc_lo, v5, v5
	s_delay_alu instid0(VALU_DEP_2) | instskip(NEXT) | instid1(VALU_DEP_1)
	v_add3_u32 v8, v5, v8, 0x7fff
	v_and_b32_e32 v8, 0xffff0000, v8
	s_delay_alu instid0(VALU_DEP_1) | instskip(NEXT) | instid1(VALU_DEP_1)
	v_cndmask_b32_e32 v5, 0x7fc00000, v8, vcc_lo
	v_mul_f32_e32 v5, v5, v9
	s_delay_alu instid0(VALU_DEP_1) | instskip(SKIP_1) | instid1(VALU_DEP_2)
	v_bfe_u32 v8, v5, 16, 1
	v_cmp_o_f32_e32 vcc_lo, v5, v5
	v_add3_u32 v8, v5, v8, 0x7fff
	s_delay_alu instid0(VALU_DEP_1) | instskip(NEXT) | instid1(VALU_DEP_1)
	v_and_b32_e32 v8, 0xffff0000, v8
	v_cndmask_b32_e32 v5, 0x7fc00000, v8, vcc_lo
	s_delay_alu instid0(VALU_DEP_1) | instskip(NEXT) | instid1(VALU_DEP_1)
	v_mul_f32_e32 v5, v1, v5
	v_rndne_f32_e32 v5, v5
	s_delay_alu instid0(VALU_DEP_1) | instskip(SKIP_2) | instid1(VALU_DEP_2)
	v_cmp_nlt_f32_e32 vcc_lo, 0x42fe0000, v5
	v_cndmask_b32_e32 v8, 0x42fe0000, v5, vcc_lo
	v_cmp_ngt_f32_e32 vcc_lo, 0xc3000000, v5
	v_cndmask_b32_e32 v5, 0xc3000000, v8, vcc_lo
	v_cmp_le_u32_e32 vcc_lo, s23, v2
	s_delay_alu instid0(VALU_DEP_2)
	v_cvt_i32_f32_e32 v5, v5
	s_or_b32 s6, vcc_lo, s6
	global_store_b8 v[6:7], v5, off
	s_wait_xcnt 0x0
	s_and_not1_b32 exec_lo, exec_lo, s6
	s_cbranch_execnz .LBB17_29
.LBB17_30:
	s_or_b32 exec_lo, exec_lo, s4
	s_branch .LBB17_75
.LBB17_31:
	s_cbranch_execz .LBB17_75
; %bb.32:
	s_load_b32 s3, s[0:1], 0x38
	s_bfe_u32 s2, ttmp6, 0x4000c
	s_and_b32 s4, ttmp6, 15
	s_add_co_i32 s2, s2, 1
	s_mov_b32 s27, 0
	s_mul_i32 s2, ttmp9, s2
	v_mov_b32_e32 v1, 0
	s_add_co_i32 s4, s4, s2
	s_cmp_eq_u32 s26, 0
	s_wait_xcnt 0x0
	s_add_nc_u64 s[0:1], s[0:1], 56
	s_cselect_b32 s26, ttmp9, s4
	s_ashr_i32 s5, s23, 31
	s_mov_b32 s4, s23
	s_ashr_i32 s11, s23, 2
	s_mul_u64 s[24:25], s[4:5], s[26:27]
	v_cmp_gt_u32_e64 s2, s11, v0
	s_lshl_b64 s[4:5], s[24:25], 1
	s_delay_alu instid0(SALU_CYCLE_1)
	s_add_nc_u64 s[16:17], s[16:17], s[4:5]
	s_and_saveexec_b32 s4, s2
	s_cbranch_execz .LBB17_42
; %bb.33:
	s_wait_kmcnt 0x0
	s_cmp_lt_u32 s26, s3
	s_mov_b32 s7, s27
	s_cselect_b32 s6, 12, 18
	v_dual_mov_b32 v1, 0 :: v_dual_mov_b32 v2, v0
	s_add_nc_u64 s[6:7], s[0:1], s[6:7]
	s_mov_b32 s8, s27
	s_load_u16 s5, s[6:7], 0x0
                                        ; implicit-def: $sgpr10
	s_wait_kmcnt 0x0
	s_lshl_b32 s6, s5, 1
	s_mul_i32 s7, s5, 3
	s_add_co_i32 s9, s5, s5
	s_branch .LBB17_37
.LBB17_34:                              ;   in Loop: Header=BB17_37 Depth=1
	s_wait_xcnt 0x0
	s_or_b32 exec_lo, exec_lo, s30
	s_delay_alu instid0(SALU_CYCLE_1)
	s_or_not1_b32 s30, s31, exec_lo
.LBB17_35:                              ;   in Loop: Header=BB17_37 Depth=1
	s_or_b32 exec_lo, exec_lo, s29
	s_delay_alu instid0(SALU_CYCLE_1) | instskip(SKIP_1) | instid1(SALU_CYCLE_1)
	s_and_not1_b32 s10, s10, exec_lo
	s_and_b32 s29, s30, exec_lo
	s_or_b32 s10, s10, s29
.LBB17_36:                              ;   in Loop: Header=BB17_37 Depth=1
	s_or_b32 exec_lo, exec_lo, s28
	s_delay_alu instid0(SALU_CYCLE_1) | instskip(NEXT) | instid1(SALU_CYCLE_1)
	s_and_b32 s28, exec_lo, s10
	s_or_b32 s8, s28, s8
	s_delay_alu instid0(SALU_CYCLE_1)
	s_and_not1_b32 exec_lo, exec_lo, s8
	s_cbranch_execz .LBB17_41
.LBB17_37:                              ; =>This Inner Loop Header: Depth=1
	global_load_b64 v[4:5], v2, s[16:17] scale_offset
	s_or_b32 s10, s10, exec_lo
	s_mov_b32 s28, exec_lo
	s_wait_loadcnt 0x0
	v_fma_mix_f32_bf16 v1, v4, v4, v1 op_sel_hi:[1,1,0]
	v_alignbit_b32 v3, v5, v4, 16
	s_delay_alu instid0(VALU_DEP_2) | instskip(NEXT) | instid1(VALU_DEP_1)
	v_fma_mix_f32_bf16 v1, v4, v4, v1 op_sel:[1,1,0] op_sel_hi:[1,1,0]
	v_fma_mix_f32_bf16 v1, v3, v3, v1 op_sel:[1,1,0] op_sel_hi:[1,1,0]
	v_add_nc_u32_e32 v3, s5, v2
	s_delay_alu instid0(VALU_DEP_2) | instskip(SKIP_1) | instid1(VALU_DEP_2)
	v_fma_mix_f32_bf16 v1, v5, v5, v1 op_sel:[1,1,0] op_sel_hi:[1,1,0]
	s_wait_xcnt 0x0
	v_cmpx_gt_u32_e64 s11, v3
	s_cbranch_execz .LBB17_36
; %bb.38:                               ;   in Loop: Header=BB17_37 Depth=1
	global_load_b64 v[4:5], v3, s[16:17] scale_offset
	s_mov_b32 s30, -1
	s_mov_b32 s29, exec_lo
	s_wait_loadcnt 0x0
	v_fma_mix_f32_bf16 v1, v4, v4, v1 op_sel_hi:[1,1,0]
	v_alignbit_b32 v6, v5, v4, 16
	s_delay_alu instid0(VALU_DEP_2) | instskip(SKIP_1) | instid1(VALU_DEP_2)
	v_fma_mix_f32_bf16 v1, v4, v4, v1 op_sel:[1,1,0] op_sel_hi:[1,1,0]
	v_add_nc_u32_e32 v4, s6, v2
	v_fma_mix_f32_bf16 v1, v6, v6, v1 op_sel:[1,1,0] op_sel_hi:[1,1,0]
	s_delay_alu instid0(VALU_DEP_1) | instskip(SKIP_1) | instid1(VALU_DEP_3)
	v_fma_mix_f32_bf16 v1, v5, v5, v1 op_sel:[1,1,0] op_sel_hi:[1,1,0]
	s_wait_xcnt 0x0
	v_cmpx_gt_u32_e64 s11, v4
	s_cbranch_execz .LBB17_35
; %bb.39:                               ;   in Loop: Header=BB17_37 Depth=1
	global_load_b64 v[4:5], v4, s[16:17] scale_offset
	s_mov_b32 s31, -1
	s_mov_b32 s30, exec_lo
	s_wait_loadcnt 0x0
	v_fma_mix_f32_bf16 v1, v4, v4, v1 op_sel_hi:[1,1,0]
	v_alignbit_b32 v6, v5, v4, 16
	s_delay_alu instid0(VALU_DEP_2) | instskip(SKIP_2) | instid1(VALU_DEP_2)
	v_fma_mix_f32_bf16 v1, v4, v4, v1 op_sel:[1,1,0] op_sel_hi:[1,1,0]
	s_wait_xcnt 0x0
	v_add_nc_u32_e32 v4, s7, v2
                                        ; implicit-def: $vgpr2
	v_fma_mix_f32_bf16 v1, v6, v6, v1 op_sel:[1,1,0] op_sel_hi:[1,1,0]
	s_delay_alu instid0(VALU_DEP_1) | instskip(NEXT) | instid1(VALU_DEP_3)
	v_fma_mix_f32_bf16 v1, v5, v5, v1 op_sel:[1,1,0] op_sel_hi:[1,1,0]
	v_cmpx_gt_u32_e64 s11, v4
	s_xor_b32 s30, exec_lo, s30
	s_cbranch_execz .LBB17_34
; %bb.40:                               ;   in Loop: Header=BB17_37 Depth=1
	global_load_b64 v[4:5], v4, s[16:17] scale_offset
	v_add3_u32 v2, s9, s5, v3
	s_delay_alu instid0(VALU_DEP_1) | instskip(SKIP_4) | instid1(VALU_DEP_2)
	v_cmp_le_u32_e32 vcc_lo, s11, v2
	s_or_not1_b32 s31, vcc_lo, exec_lo
	s_wait_loadcnt 0x0
	v_fma_mix_f32_bf16 v1, v4, v4, v1 op_sel_hi:[1,1,0]
	v_alignbit_b32 v6, v5, v4, 16
	v_fma_mix_f32_bf16 v1, v4, v4, v1 op_sel:[1,1,0] op_sel_hi:[1,1,0]
	s_delay_alu instid0(VALU_DEP_1) | instskip(NEXT) | instid1(VALU_DEP_1)
	v_fma_mix_f32_bf16 v1, v6, v6, v1 op_sel:[1,1,0] op_sel_hi:[1,1,0]
	v_fma_mix_f32_bf16 v1, v5, v5, v1 op_sel:[1,1,0] op_sel_hi:[1,1,0]
	s_branch .LBB17_34
.LBB17_41:
	s_or_b32 exec_lo, exec_lo, s8
.LBB17_42:
	s_delay_alu instid0(SALU_CYCLE_1)
	s_or_b32 exec_lo, exec_lo, s4
	v_mbcnt_lo_u32_b32 v2, -1, 0
	s_wait_kmcnt 0x0
	s_cmp_lt_u32 s26, s3
	s_mov_b32 s5, 0
	s_cselect_b32 s4, 12, 18
	v_and_b32_e32 v5, 0x3c0, v0
	v_cmp_ne_u32_e32 vcc_lo, 63, v2
	s_add_nc_u64 s[0:1], s[0:1], s[4:5]
	v_cmp_eq_u32_e64 s6, 0, v2
	s_load_u16 s28, s[0:1], 0x0
	v_add_nc_u32_e32 v6, 1, v2
	v_add_co_ci_u32_e64 v3, null, 0, v2, vcc_lo
	v_cmp_gt_u32_e32 vcc_lo, 62, v2
	v_dual_add_nc_u32 v8, 4, v2 :: v_dual_add_nc_u32 v10, 8, v2
	s_delay_alu instid0(VALU_DEP_3)
	v_lshlrev_b32_e32 v4, 2, v3
	v_cndmask_b32_e64 v7, 0, 2, vcc_lo
	v_cmp_gt_u32_e32 vcc_lo, 60, v2
	ds_bpermute_b32 v3, v4, v1
	s_wait_kmcnt 0x0
	v_sub_nc_u32_e64 v9, s28, v5 clamp
	v_add_lshl_u32 v5, v7, v2, 2
	v_add_nc_u32_e32 v7, 2, v2
	s_delay_alu instid0(VALU_DEP_3) | instskip(SKIP_1) | instid1(VALU_DEP_3)
	v_cmp_lt_u32_e64 s0, v6, v9
	v_cndmask_b32_e64 v6, 0, 4, vcc_lo
	v_cmp_lt_u32_e64 s1, v7, v9
	v_cmp_gt_u32_e32 vcc_lo, 56, v2
	v_cmp_lt_u32_e64 s3, v8, v9
	v_cmp_lt_u32_e64 s4, v10, v9
	v_add_lshl_u32 v6, v6, v2, 2
	s_wait_dscnt 0x0
	v_dual_add_f32 v3, v1, v3 :: v_dual_add_nc_u32 v10, 16, v2
	v_cndmask_b32_e64 v7, 0, 8, vcc_lo
	v_cmp_gt_u32_e32 vcc_lo, 48, v2
	s_delay_alu instid0(VALU_DEP_3) | instskip(NEXT) | instid1(VALU_DEP_4)
	v_cndmask_b32_e64 v1, v1, v3, s0
	v_cmp_lt_u32_e64 s5, v10, v9
	s_delay_alu instid0(VALU_DEP_4)
	v_add_lshl_u32 v7, v7, v2, 2
	v_cndmask_b32_e64 v8, 0, 16, vcc_lo
	ds_bpermute_b32 v3, v5, v1
	v_add_lshl_u32 v8, v8, v2, 2
	s_wait_dscnt 0x0
	v_add_f32_e32 v3, v1, v3
	s_delay_alu instid0(VALU_DEP_1) | instskip(SKIP_3) | instid1(VALU_DEP_1)
	v_cndmask_b32_e64 v1, v1, v3, s1
	ds_bpermute_b32 v3, v6, v1
	s_wait_dscnt 0x0
	v_add_f32_e32 v3, v1, v3
	v_cndmask_b32_e64 v1, v1, v3, s3
	ds_bpermute_b32 v3, v7, v1
	s_wait_dscnt 0x0
	v_add_f32_e32 v3, v1, v3
	s_delay_alu instid0(VALU_DEP_1) | instskip(SKIP_3) | instid1(VALU_DEP_1)
	v_cndmask_b32_e64 v1, v1, v3, s4
	ds_bpermute_b32 v3, v8, v1
	s_wait_dscnt 0x0
	v_dual_add_f32 v11, v1, v3 :: v_dual_lshlrev_b32 v3, 2, v2
	v_dual_cndmask_b32 v1, v1, v11, s5 :: v_dual_bitop2_b32 v11, 32, v2 bitop3:0x54
	ds_bpermute_b32 v10, v3, v1 offset:128
	v_cmp_lt_u32_e64 s8, v11, v9
	s_wait_dscnt 0x0
	v_add_f32_e32 v10, v1, v10
	s_delay_alu instid0(VALU_DEP_1)
	v_cndmask_b32_e64 v1, v1, v10, s8
	s_and_saveexec_b32 s7, s6
; %bb.43:
	v_lshrrev_b32_e32 v9, 4, v0
	s_delay_alu instid0(VALU_DEP_1)
	v_and_b32_e32 v9, 60, v9
	ds_store_b32 v9, v1
; %bb.44:
	s_or_b32 exec_lo, exec_lo, s7
	v_cmp_gt_u32_e64 s7, 16, v0
	s_wait_storecnt_dscnt 0x0
	s_barrier_signal -1
	s_barrier_wait -1
	s_and_saveexec_b32 s10, s7
	s_cbranch_execz .LBB17_46
; %bb.45:
	ds_load_b32 v1, v3
	v_and_b32_e32 v9, 15, v2
	s_add_co_i32 s9, s28, 63
	s_delay_alu instid0(SALU_CYCLE_1) | instskip(NEXT) | instid1(VALU_DEP_1)
	s_lshr_b32 s29, s9, 6
	v_cmp_ne_u32_e32 vcc_lo, 15, v9
	v_add_nc_u32_e32 v12, 1, v9
	v_add_co_ci_u32_e64 v10, null, 0, v2, vcc_lo
	v_cmp_gt_u32_e32 vcc_lo, 14, v9
	s_delay_alu instid0(VALU_DEP_2)
	v_lshlrev_b32_e32 v10, 2, v10
	v_cndmask_b32_e64 v11, 0, 2, vcc_lo
	v_cmp_gt_u32_e32 vcc_lo, s29, v12
	s_wait_dscnt 0x0
	ds_bpermute_b32 v10, v10, v1
	v_add_lshl_u32 v11, v11, v2, 2
	s_wait_dscnt 0x0
	v_add_f32_e32 v10, v1, v10
	s_delay_alu instid0(VALU_DEP_1)
	v_cndmask_b32_e32 v10, v1, v10, vcc_lo
	ds_bpermute_b32 v11, v11, v10
	s_wait_dscnt 0x0
	v_add_f32_e32 v11, v10, v11
	v_cmp_gt_u32_e64 s9, 12, v9
	v_add_nc_u32_e32 v13, 2, v9
	s_delay_alu instid0(VALU_DEP_2) | instskip(NEXT) | instid1(VALU_DEP_2)
	v_cndmask_b32_e64 v12, 0, 4, s9
	v_cmp_gt_u32_e64 s9, s29, v13
	s_delay_alu instid0(VALU_DEP_2) | instskip(NEXT) | instid1(VALU_DEP_2)
	v_add_lshl_u32 v12, v12, v2, 2
	v_cndmask_b32_e64 v10, v10, v11, s9
	ds_bpermute_b32 v11, v12, v10
	v_dual_add_nc_u32 v12, 4, v9 :: v_dual_add_nc_u32 v9, 8, v9
	s_delay_alu instid0(VALU_DEP_1) | instskip(SKIP_2) | instid1(VALU_DEP_1)
	v_cmp_gt_u32_e64 s9, s29, v12
	s_wait_dscnt 0x0
	v_add_f32_e32 v11, v10, v11
	v_cndmask_b32_e64 v10, v10, v11, s9
	v_or_b32_e32 v11, 32, v3
	v_cmp_gt_u32_e64 s9, s29, v9
	ds_bpermute_b32 v11, v11, v10
	s_wait_dscnt 0x0
	v_add_f32_e32 v11, v10, v11
	s_delay_alu instid0(VALU_DEP_1) | instskip(NEXT) | instid1(VALU_DEP_1)
	v_cndmask_b32_e64 v9, v10, v11, s9
	v_cndmask_b32_e32 v1, v1, v9, vcc_lo
.LBB17_46:
	s_or_b32 exec_lo, exec_lo, s10
	v_cmp_eq_u32_e64 s9, 0, v0
	s_and_saveexec_b32 s10, s9
	s_cbranch_execz .LBB17_48
; %bb.47:
	s_cvt_f32_i32 s23, s23
	s_delay_alu instid0(SALU_CYCLE_3) | instskip(SKIP_1) | instid1(VALU_DEP_2)
	v_div_scale_f32 v9, null, s23, s23, v1
	v_div_scale_f32 v12, vcc_lo, v1, s23, v1
	v_rcp_f32_e32 v10, v9
	v_nop
	s_delay_alu instid0(TRANS32_DEP_1) | instskip(NEXT) | instid1(VALU_DEP_1)
	v_fma_f32 v11, -v9, v10, 1.0
	v_fmac_f32_e32 v10, v11, v10
	s_delay_alu instid0(VALU_DEP_1) | instskip(NEXT) | instid1(VALU_DEP_1)
	v_mul_f32_e32 v11, v12, v10
	v_fma_f32 v13, -v9, v11, v12
	s_delay_alu instid0(VALU_DEP_1) | instskip(NEXT) | instid1(VALU_DEP_1)
	v_fmac_f32_e32 v11, v13, v10
	v_fma_f32 v9, -v9, v11, v12
	s_delay_alu instid0(VALU_DEP_1) | instskip(NEXT) | instid1(VALU_DEP_1)
	v_div_fmas_f32 v9, v9, v10, v11
	v_div_fixup_f32 v1, v9, s23, v1
	s_delay_alu instid0(VALU_DEP_1) | instskip(NEXT) | instid1(VALU_DEP_1)
	v_add_f32_e32 v1, s22, v1
	v_mul_f32_e32 v9, 0x4b800000, v1
	v_cmp_gt_f32_e32 vcc_lo, 0x800000, v1
	s_delay_alu instid0(VALU_DEP_2) | instskip(NEXT) | instid1(VALU_DEP_1)
	v_cndmask_b32_e32 v1, v1, v9, vcc_lo
	v_rsq_f32_e32 v1, v1
	v_nop
	s_delay_alu instid0(TRANS32_DEP_1) | instskip(NEXT) | instid1(VALU_DEP_1)
	v_mul_f32_e32 v9, 0x45800000, v1
	v_dual_cndmask_b32 v1, v1, v9, vcc_lo :: v_dual_mov_b32 v9, 0
	ds_store_b32 v9, v1 offset:256
.LBB17_48:
	s_or_b32 exec_lo, exec_lo, s10
	v_mov_b32_e32 v9, 0
	s_wait_dscnt 0x0
	s_barrier_signal -1
	s_barrier_wait -1
	ds_load_b32 v1, v9 offset:256
	s_and_saveexec_b32 s22, s2
	s_cbranch_execz .LBB17_58
; %bb.49:
	v_dual_mov_b32 v9, 0 :: v_dual_mov_b32 v10, v0
	s_lshl_b32 s23, s28, 1
	s_mul_i32 s30, s28, 3
	s_mov_b32 s29, 0
	s_add_co_i32 s31, s28, s28
                                        ; implicit-def: $sgpr33
	s_branch .LBB17_53
.LBB17_50:                              ;   in Loop: Header=BB17_53 Depth=1
	s_or_b32 exec_lo, exec_lo, s36
	s_delay_alu instid0(SALU_CYCLE_1)
	s_or_not1_b32 s10, s10, exec_lo
.LBB17_51:                              ;   in Loop: Header=BB17_53 Depth=1
	s_or_b32 exec_lo, exec_lo, s35
	s_delay_alu instid0(SALU_CYCLE_1) | instskip(SKIP_1) | instid1(SALU_CYCLE_1)
	s_and_not1_b32 s33, s33, exec_lo
	s_and_b32 s10, s10, exec_lo
	s_or_b32 s33, s33, s10
.LBB17_52:                              ;   in Loop: Header=BB17_53 Depth=1
	s_or_b32 exec_lo, exec_lo, s34
	s_delay_alu instid0(SALU_CYCLE_1) | instskip(NEXT) | instid1(SALU_CYCLE_1)
	s_and_b32 s10, exec_lo, s33
	s_or_b32 s29, s10, s29
	s_delay_alu instid0(SALU_CYCLE_1)
	s_and_not1_b32 exec_lo, exec_lo, s29
	s_cbranch_execz .LBB17_57
.LBB17_53:                              ; =>This Inner Loop Header: Depth=1
	s_clause 0x1
	global_load_b64 v[12:13], v10, s[16:17] scale_offset
	global_load_b64 v[14:15], v10, s[18:19] scale_offset
	s_or_b32 s33, s33, exec_lo
	s_mov_b32 s34, exec_lo
	s_wait_loadcnt 0x1
	v_and_b32_e32 v17, 0xffff0000, v12
	v_lshlrev_b32_e32 v11, 16, v12
	v_alignbit_b32 v12, v13, v12, 16
	v_and_b32_e32 v13, 0xffff0000, v13
	s_wait_loadcnt_dscnt 0x0
	v_dual_mul_f32 v17, v1, v17 :: v_dual_lshlrev_b32 v18, 16, v14
	v_mul_f32_e32 v11, v1, v11
	v_and_b32_e32 v12, 0xffff0000, v12
	v_mul_f32_e32 v13, v1, v13
	s_delay_alu instid0(VALU_DEP_4) | instskip(NEXT) | instid1(VALU_DEP_4)
	v_bfe_u32 v19, v17, 16, 1
	v_bfe_u32 v16, v11, 16, 1
	v_cmp_o_f32_e32 vcc_lo, v11, v11
	v_mul_f32_e32 v12, v1, v12
	s_delay_alu instid0(VALU_DEP_3) | instskip(NEXT) | instid1(VALU_DEP_2)
	v_add3_u32 v16, v11, v16, 0x7fff
	v_bfe_u32 v21, v12, 16, 1
	s_delay_alu instid0(VALU_DEP_2) | instskip(NEXT) | instid1(VALU_DEP_1)
	v_and_b32_e32 v16, 0xffff0000, v16
	v_cndmask_b32_e32 v11, 0x7fc00000, v16, vcc_lo
	v_add3_u32 v16, v17, v19, 0x7fff
	v_cmp_o_f32_e32 vcc_lo, v17, v17
	v_and_b32_e32 v19, 0xffff0000, v14
	v_alignbit_b32 v14, v15, v14, 16
	v_mul_f32_e32 v11, v11, v18
	v_and_b32_e32 v16, 0xffff0000, v16
	v_max_num_f32_e32 v18, v9, v9
	s_delay_alu instid0(VALU_DEP_4) | instskip(NEXT) | instid1(VALU_DEP_4)
	v_and_b32_e32 v14, 0xffff0000, v14
	v_bfe_u32 v20, v11, 16, 1
	s_delay_alu instid0(VALU_DEP_4) | instskip(SKIP_1) | instid1(VALU_DEP_3)
	v_cndmask_b32_e32 v16, 0x7fc00000, v16, vcc_lo
	v_cmp_o_f32_e32 vcc_lo, v12, v12
	v_add3_u32 v17, v11, v20, 0x7fff
	v_add3_u32 v20, v12, v21, 0x7fff
	v_bfe_u32 v21, v13, 16, 1
	s_delay_alu instid0(VALU_DEP_3) | instskip(NEXT) | instid1(VALU_DEP_1)
	v_and_b32_e32 v17, 0xffff0000, v17
	v_max_num_f32_e64 v17, |v17|, |v17|
	v_mul_f32_e32 v16, v16, v19
	v_and_b32_e32 v19, 0xffff0000, v20
	s_delay_alu instid0(VALU_DEP_3) | instskip(NEXT) | instid1(VALU_DEP_3)
	v_max_num_f32_e32 v17, v18, v17
	v_bfe_u32 v20, v16, 16, 1
	s_delay_alu instid0(VALU_DEP_3)
	v_cndmask_b32_e32 v12, 0x7fc00000, v19, vcc_lo
	v_add3_u32 v18, v13, v21, 0x7fff
	v_cmp_u_f32_e32 vcc_lo, v11, v11
	v_and_b32_e32 v11, 0xffff0000, v15
	v_add3_u32 v19, v16, v20, 0x7fff
	v_mul_f32_e32 v12, v12, v14
	v_and_b32_e32 v15, 0xffff0000, v18
	v_cndmask_b32_e32 v9, v17, v9, vcc_lo
	v_cmp_o_f32_e32 vcc_lo, v13, v13
	v_and_b32_e32 v14, 0xffff0000, v19
	v_bfe_u32 v17, v12, 16, 1
	s_delay_alu instid0(VALU_DEP_4) | instskip(NEXT) | instid1(VALU_DEP_3)
	v_dual_max_num_f32 v18, v9, v9 :: v_dual_cndmask_b32 v13, 0x7fc00000, v15
	v_max_num_f32_e64 v14, |v14|, |v14|
	s_delay_alu instid0(VALU_DEP_3) | instskip(SKIP_1) | instid1(VALU_DEP_3)
	v_add3_u32 v15, v12, v17, 0x7fff
	v_cmp_u_f32_e32 vcc_lo, v16, v16
	v_dual_mul_f32 v13, v13, v11 :: v_dual_max_num_f32 v14, v18, v14
	s_delay_alu instid0(VALU_DEP_3) | instskip(NEXT) | instid1(VALU_DEP_1)
	v_and_b32_e32 v11, 0xffff0000, v15
	v_max_num_f32_e64 v11, |v11|, |v11|
	s_delay_alu instid0(VALU_DEP_3) | instskip(NEXT) | instid1(VALU_DEP_4)
	v_cndmask_b32_e32 v9, v14, v9, vcc_lo
	v_bfe_u32 v14, v13, 16, 1
	v_cmp_u_f32_e32 vcc_lo, v12, v12
	s_delay_alu instid0(VALU_DEP_3) | instskip(NEXT) | instid1(VALU_DEP_3)
	v_max_num_f32_e32 v15, v9, v9
	v_add3_u32 v14, v13, v14, 0x7fff
	s_delay_alu instid0(VALU_DEP_2) | instskip(NEXT) | instid1(VALU_DEP_2)
	v_max_num_f32_e32 v11, v15, v11
	v_and_b32_e32 v14, 0xffff0000, v14
	s_delay_alu instid0(VALU_DEP_2) | instskip(NEXT) | instid1(VALU_DEP_2)
	v_cndmask_b32_e32 v9, v11, v9, vcc_lo
	v_max_num_f32_e64 v11, |v14|, |v14|
	v_cmp_u_f32_e32 vcc_lo, v13, v13
	s_delay_alu instid0(VALU_DEP_3) | instskip(NEXT) | instid1(VALU_DEP_1)
	v_max_num_f32_e32 v12, v9, v9
	v_dual_max_num_f32 v12, v12, v11 :: v_dual_add_nc_u32 v11, s28, v10
	s_delay_alu instid0(VALU_DEP_1) | instskip(NEXT) | instid1(VALU_DEP_2)
	v_cndmask_b32_e32 v9, v12, v9, vcc_lo
	v_cmpx_gt_u32_e64 s11, v11
	s_cbranch_execz .LBB17_52
; %bb.54:                               ;   in Loop: Header=BB17_53 Depth=1
	s_clause 0x1
	global_load_b64 v[12:13], v11, s[16:17] scale_offset
	global_load_b64 v[14:15], v11, s[18:19] scale_offset
	s_mov_b32 s10, -1
	s_mov_b32 s35, exec_lo
	s_wait_loadcnt 0x1
	v_and_b32_e32 v18, 0xffff0000, v12
	v_lshlrev_b32_e32 v16, 16, v12
	v_alignbit_b32 v12, v13, v12, 16
	v_and_b32_e32 v13, 0xffff0000, v13
	s_wait_loadcnt 0x0
	v_lshlrev_b32_e32 v19, 16, v14
	v_dual_mul_f32 v18, v1, v18 :: v_dual_mul_f32 v16, v1, v16
	v_and_b32_e32 v12, 0xffff0000, v12
	s_delay_alu instid0(VALU_DEP_2) | instskip(NEXT) | instid1(VALU_DEP_3)
	v_bfe_u32 v20, v18, 16, 1
	v_bfe_u32 v17, v16, 16, 1
	v_cmp_o_f32_e32 vcc_lo, v16, v16
	s_delay_alu instid0(VALU_DEP_4) | instskip(NEXT) | instid1(VALU_DEP_3)
	v_mul_f32_e32 v12, v1, v12
	v_add3_u32 v17, v16, v17, 0x7fff
	s_delay_alu instid0(VALU_DEP_2) | instskip(NEXT) | instid1(VALU_DEP_2)
	v_bfe_u32 v22, v12, 16, 1
	v_and_b32_e32 v17, 0xffff0000, v17
	s_delay_alu instid0(VALU_DEP_1)
	v_cndmask_b32_e32 v16, 0x7fc00000, v17, vcc_lo
	v_add3_u32 v17, v18, v20, 0x7fff
	v_cmp_o_f32_e32 vcc_lo, v18, v18
	v_and_b32_e32 v20, 0xffff0000, v14
	v_alignbit_b32 v14, v15, v14, 16
	v_and_b32_e32 v15, 0xffff0000, v15
	v_and_b32_e32 v17, 0xffff0000, v17
	s_delay_alu instid0(VALU_DEP_3) | instskip(NEXT) | instid1(VALU_DEP_2)
	v_and_b32_e32 v14, 0xffff0000, v14
	v_cndmask_b32_e32 v17, 0x7fc00000, v17, vcc_lo
	v_cmp_o_f32_e32 vcc_lo, v12, v12
	s_delay_alu instid0(VALU_DEP_2) | instskip(NEXT) | instid1(VALU_DEP_1)
	v_dual_mul_f32 v17, v17, v20 :: v_dual_mul_f32 v16, v16, v19
	v_bfe_u32 v21, v16, 16, 1
	s_delay_alu instid0(VALU_DEP_1) | instskip(SKIP_1) | instid1(VALU_DEP_2)
	v_add3_u32 v18, v16, v21, 0x7fff
	v_add3_u32 v21, v12, v22, 0x7fff
	v_and_b32_e32 v18, 0xffff0000, v18
	s_delay_alu instid0(VALU_DEP_2) | instskip(SKIP_2) | instid1(VALU_DEP_4)
	v_and_b32_e32 v20, 0xffff0000, v21
	v_max_num_f32_e32 v19, v9, v9
	v_bfe_u32 v21, v17, 16, 1
	v_max_num_f32_e64 v18, |v18|, |v18|
	s_delay_alu instid0(VALU_DEP_4) | instskip(NEXT) | instid1(VALU_DEP_3)
	v_dual_cndmask_b32 v12, 0x7fc00000, v20 :: v_dual_mul_f32 v13, v1, v13
	v_add3_u32 v20, v17, v21, 0x7fff
	v_cmp_u_f32_e32 vcc_lo, v16, v16
	s_delay_alu instid0(VALU_DEP_4) | instskip(NEXT) | instid1(VALU_DEP_4)
	v_max_num_f32_e32 v18, v19, v18
	v_mul_f32_e32 v12, v12, v14
	v_bfe_u32 v22, v13, 16, 1
	v_and_b32_e32 v14, 0xffff0000, v20
	s_delay_alu instid0(VALU_DEP_2) | instskip(NEXT) | instid1(VALU_DEP_2)
	v_add3_u32 v19, v13, v22, 0x7fff
	v_max_num_f32_e64 v14, |v14|, |v14|
	v_cndmask_b32_e32 v9, v18, v9, vcc_lo
	v_cmp_o_f32_e32 vcc_lo, v13, v13
	v_bfe_u32 v18, v12, 16, 1
	v_and_b32_e32 v16, 0xffff0000, v19
	s_delay_alu instid0(VALU_DEP_1) | instskip(SKIP_3) | instid1(VALU_DEP_2)
	v_cndmask_b32_e32 v13, 0x7fc00000, v16, vcc_lo
	v_cmp_u_f32_e32 vcc_lo, v17, v17
	v_max_num_f32_e32 v19, v9, v9
	v_add3_u32 v16, v12, v18, 0x7fff
	v_dual_mul_f32 v13, v13, v15 :: v_dual_max_num_f32 v14, v19, v14
	s_delay_alu instid0(VALU_DEP_2) | instskip(NEXT) | instid1(VALU_DEP_2)
	v_and_b32_e32 v15, 0xffff0000, v16
	v_cndmask_b32_e32 v9, v14, v9, vcc_lo
	s_delay_alu instid0(VALU_DEP_2) | instskip(SKIP_1) | instid1(VALU_DEP_3)
	v_max_num_f32_e64 v15, |v15|, |v15|
	v_cmp_u_f32_e32 vcc_lo, v12, v12
	v_max_num_f32_e32 v16, v9, v9
	s_delay_alu instid0(VALU_DEP_1) | instskip(SKIP_1) | instid1(VALU_DEP_1)
	v_max_num_f32_e32 v15, v16, v15
	v_bfe_u32 v14, v13, 16, 1
	v_add3_u32 v14, v13, v14, 0x7fff
	s_delay_alu instid0(VALU_DEP_1) | instskip(NEXT) | instid1(VALU_DEP_1)
	v_and_b32_e32 v14, 0xffff0000, v14
	v_max_num_f32_e64 v12, |v14|, |v14|
	v_cndmask_b32_e32 v9, v15, v9, vcc_lo
	v_cmp_u_f32_e32 vcc_lo, v13, v13
	s_delay_alu instid0(VALU_DEP_2) | instskip(NEXT) | instid1(VALU_DEP_1)
	v_max_num_f32_e32 v14, v9, v9
	v_dual_max_num_f32 v14, v14, v12 :: v_dual_add_nc_u32 v12, s23, v10
	s_delay_alu instid0(VALU_DEP_1) | instskip(NEXT) | instid1(VALU_DEP_2)
	v_cndmask_b32_e32 v9, v14, v9, vcc_lo
	v_cmpx_gt_u32_e64 s11, v12
	s_cbranch_execz .LBB17_51
; %bb.55:                               ;   in Loop: Header=BB17_53 Depth=1
	s_clause 0x1
	global_load_b64 v[14:15], v12, s[16:17] scale_offset
	global_load_b64 v[16:17], v12, s[18:19] scale_offset
	s_mov_b32 s36, exec_lo
	s_wait_loadcnt 0x0
	v_dual_lshlrev_b32 v12, 16, v14 :: v_dual_lshlrev_b32 v19, 16, v16
	v_and_b32_e32 v18, 0xffff0000, v14
	v_alignbit_b32 v14, v15, v14, 16
	v_and_b32_e32 v15, 0xffff0000, v15
	s_delay_alu instid0(VALU_DEP_3) | instskip(NEXT) | instid1(VALU_DEP_2)
	v_dual_mul_f32 v12, v1, v12 :: v_dual_mul_f32 v18, v1, v18
	v_mul_f32_e32 v15, v1, v15
	s_delay_alu instid0(VALU_DEP_2) | instskip(SKIP_1) | instid1(VALU_DEP_4)
	v_bfe_u32 v13, v12, 16, 1
	v_cmp_o_f32_e32 vcc_lo, v12, v12
	v_bfe_u32 v20, v18, 16, 1
	s_delay_alu instid0(VALU_DEP_3) | instskip(NEXT) | instid1(VALU_DEP_1)
	v_add3_u32 v13, v12, v13, 0x7fff
	v_and_b32_e32 v13, 0xffff0000, v13
	s_delay_alu instid0(VALU_DEP_1)
	v_cndmask_b32_e32 v12, 0x7fc00000, v13, vcc_lo
	v_and_b32_e32 v13, 0xffff0000, v14
	v_add3_u32 v14, v18, v20, 0x7fff
	v_cmp_o_f32_e32 vcc_lo, v18, v18
	v_and_b32_e32 v20, 0xffff0000, v16
	v_alignbit_b32 v16, v17, v16, 16
	v_dual_mul_f32 v13, v1, v13 :: v_dual_mul_f32 v12, v12, v19
	v_max_num_f32_e32 v19, v9, v9
	v_and_b32_e32 v14, 0xffff0000, v14
	s_delay_alu instid0(VALU_DEP_4) | instskip(NEXT) | instid1(VALU_DEP_4)
	v_and_b32_e32 v16, 0xffff0000, v16
	v_bfe_u32 v22, v13, 16, 1
	v_bfe_u32 v21, v12, 16, 1
	s_delay_alu instid0(VALU_DEP_4) | instskip(SKIP_1) | instid1(VALU_DEP_3)
	v_cndmask_b32_e32 v14, 0x7fc00000, v14, vcc_lo
	v_cmp_o_f32_e32 vcc_lo, v13, v13
	v_add3_u32 v18, v12, v21, 0x7fff
	v_add3_u32 v21, v13, v22, 0x7fff
	s_delay_alu instid0(VALU_DEP_4) | instskip(SKIP_1) | instid1(VALU_DEP_4)
	v_mul_f32_e32 v14, v14, v20
	v_bfe_u32 v22, v15, 16, 1
	v_and_b32_e32 v18, 0xffff0000, v18
	s_delay_alu instid0(VALU_DEP_4) | instskip(NEXT) | instid1(VALU_DEP_2)
	v_and_b32_e32 v20, 0xffff0000, v21
	v_max_num_f32_e64 v18, |v18|, |v18|
	s_delay_alu instid0(VALU_DEP_2) | instskip(SKIP_3) | instid1(VALU_DEP_4)
	v_cndmask_b32_e32 v13, 0x7fc00000, v20, vcc_lo
	v_bfe_u32 v21, v14, 16, 1
	v_cmp_u_f32_e32 vcc_lo, v12, v12
	v_and_b32_e32 v12, 0xffff0000, v17
	v_dual_max_num_f32 v18, v19, v18 :: v_dual_mul_f32 v13, v13, v16
	s_delay_alu instid0(VALU_DEP_4) | instskip(SKIP_1) | instid1(VALU_DEP_2)
	v_add3_u32 v20, v14, v21, 0x7fff
	v_add3_u32 v19, v15, v22, 0x7fff
	v_and_b32_e32 v16, 0xffff0000, v20
	s_delay_alu instid0(VALU_DEP_2) | instskip(NEXT) | instid1(VALU_DEP_2)
	v_and_b32_e32 v17, 0xffff0000, v19
	v_max_num_f32_e64 v16, |v16|, |v16|
	v_cndmask_b32_e32 v9, v18, v9, vcc_lo
	v_cmp_o_f32_e32 vcc_lo, v15, v15
	v_bfe_u32 v18, v13, 16, 1
	v_cndmask_b32_e32 v15, 0x7fc00000, v17, vcc_lo
	s_delay_alu instid0(VALU_DEP_4) | instskip(NEXT) | instid1(VALU_DEP_3)
	v_max_num_f32_e32 v19, v9, v9
	v_add3_u32 v17, v13, v18, 0x7fff
	v_cmp_u_f32_e32 vcc_lo, v14, v14
	s_delay_alu instid0(VALU_DEP_4) | instskip(NEXT) | instid1(VALU_DEP_4)
	v_mul_f32_e32 v15, v15, v12
	v_max_num_f32_e32 v16, v19, v16
	s_delay_alu instid0(VALU_DEP_4) | instskip(NEXT) | instid1(VALU_DEP_3)
	v_and_b32_e32 v12, 0xffff0000, v17
	v_bfe_u32 v14, v15, 16, 1
	s_delay_alu instid0(VALU_DEP_3) | instskip(NEXT) | instid1(VALU_DEP_3)
	v_cndmask_b32_e32 v9, v16, v9, vcc_lo
	v_max_num_f32_e64 v12, |v12|, |v12|
	v_cmp_u_f32_e32 vcc_lo, v13, v13
	s_delay_alu instid0(VALU_DEP_4) | instskip(NEXT) | instid1(VALU_DEP_4)
	v_add3_u32 v14, v15, v14, 0x7fff
	v_max_num_f32_e32 v16, v9, v9
	s_delay_alu instid0(VALU_DEP_2) | instskip(NEXT) | instid1(VALU_DEP_2)
	v_and_b32_e32 v14, 0xffff0000, v14
	v_max_num_f32_e32 v12, v16, v12
	s_delay_alu instid0(VALU_DEP_1) | instskip(NEXT) | instid1(VALU_DEP_3)
	v_cndmask_b32_e32 v9, v12, v9, vcc_lo
	v_max_num_f32_e64 v12, |v14|, |v14|
	v_cmp_u_f32_e32 vcc_lo, v15, v15
	s_delay_alu instid0(VALU_DEP_3) | instskip(NEXT) | instid1(VALU_DEP_1)
	v_max_num_f32_e32 v13, v9, v9
	v_dual_max_num_f32 v13, v13, v12 :: v_dual_add_nc_u32 v12, s30, v10
                                        ; implicit-def: $vgpr10
	s_delay_alu instid0(VALU_DEP_1) | instskip(NEXT) | instid1(VALU_DEP_2)
	v_cndmask_b32_e32 v9, v13, v9, vcc_lo
	v_cmpx_gt_u32_e64 s11, v12
	s_xor_b32 s36, exec_lo, s36
	s_cbranch_execz .LBB17_50
; %bb.56:                               ;   in Loop: Header=BB17_53 Depth=1
	s_clause 0x1
	global_load_b64 v[14:15], v12, s[16:17] scale_offset
	global_load_b64 v[16:17], v12, s[18:19] scale_offset
	s_wait_loadcnt 0x1
	v_and_b32_e32 v13, 0xffff0000, v14
	v_lshlrev_b32_e32 v10, 16, v14
	v_alignbit_b32 v14, v15, v14, 16
	v_and_b32_e32 v15, 0xffff0000, v15
	s_wait_loadcnt 0x0
	v_dual_mul_f32 v13, v1, v13 :: v_dual_lshlrev_b32 v18, 16, v16
	v_mul_f32_e32 v10, v1, v10
	s_delay_alu instid0(VALU_DEP_2) | instskip(NEXT) | instid1(VALU_DEP_2)
	v_bfe_u32 v19, v13, 16, 1
	v_bfe_u32 v12, v10, 16, 1
	v_cmp_o_f32_e32 vcc_lo, v10, v10
	s_delay_alu instid0(VALU_DEP_2) | instskip(NEXT) | instid1(VALU_DEP_1)
	v_add3_u32 v12, v10, v12, 0x7fff
	v_and_b32_e32 v12, 0xffff0000, v12
	s_delay_alu instid0(VALU_DEP_1) | instskip(SKIP_3) | instid1(VALU_DEP_3)
	v_cndmask_b32_e32 v10, 0x7fc00000, v12, vcc_lo
	v_and_b32_e32 v12, 0xffff0000, v14
	v_add3_u32 v14, v13, v19, 0x7fff
	v_cmp_o_f32_e32 vcc_lo, v13, v13
	v_dual_mul_f32 v10, v10, v18 :: v_dual_mul_f32 v12, v1, v12
	s_delay_alu instid0(VALU_DEP_3) | instskip(SKIP_2) | instid1(VALU_DEP_4)
	v_and_b32_e32 v14, 0xffff0000, v14
	v_and_b32_e32 v18, 0xffff0000, v16
	v_alignbit_b32 v16, v17, v16, 16
	v_bfe_u32 v19, v10, 16, 1
	v_bfe_u32 v20, v12, 16, 1
	v_dual_cndmask_b32 v13, 0x7fc00000, v14 :: v_dual_max_num_f32 v14, v9, v9
	v_cmp_o_f32_e32 vcc_lo, v12, v12
	s_delay_alu instid0(VALU_DEP_4) | instskip(NEXT) | instid1(VALU_DEP_4)
	v_add3_u32 v19, v10, v19, 0x7fff
	v_add3_u32 v20, v12, v20, 0x7fff
	s_delay_alu instid0(VALU_DEP_4)
	v_mul_f32_e32 v13, v13, v18
	v_and_b32_e32 v17, 0xffff0000, v17
	v_and_b32_e32 v16, 0xffff0000, v16
	;; [unrolled: 1-line block ×4, first 2 shown]
	v_bfe_u32 v20, v13, 16, 1
	s_delay_alu instid0(VALU_DEP_3) | instskip(SKIP_1) | instid1(VALU_DEP_4)
	v_max_num_f32_e64 v18, |v18|, |v18|
	v_mul_f32_e32 v15, v1, v15
	v_cndmask_b32_e32 v12, 0x7fc00000, v19, vcc_lo
	v_cmp_u_f32_e32 vcc_lo, v10, v10
	v_add3_u32 v19, v13, v20, 0x7fff
	v_max_num_f32_e32 v14, v14, v18
	v_bfe_u32 v18, v15, 16, 1
	s_delay_alu instid0(VALU_DEP_2) | instskip(NEXT) | instid1(VALU_DEP_2)
	v_cndmask_b32_e32 v9, v14, v9, vcc_lo
	v_add3_u32 v10, v15, v18, 0x7fff
	v_cmp_o_f32_e32 vcc_lo, v15, v15
	s_delay_alu instid0(VALU_DEP_3) | instskip(NEXT) | instid1(VALU_DEP_3)
	v_max_num_f32_e32 v18, v9, v9
	v_and_b32_e32 v10, 0xffff0000, v10
	s_delay_alu instid0(VALU_DEP_1) | instskip(SKIP_1) | instid1(VALU_DEP_2)
	v_cndmask_b32_e32 v10, 0x7fc00000, v10, vcc_lo
	v_cmp_u_f32_e32 vcc_lo, v13, v13
	v_dual_mul_f32 v13, v10, v17 :: v_dual_mul_f32 v12, v12, v16
	v_and_b32_e32 v16, 0xffff0000, v19
	s_delay_alu instid0(VALU_DEP_2) | instskip(NEXT) | instid1(VALU_DEP_3)
	v_bfe_u32 v15, v13, 16, 1
	v_bfe_u32 v14, v12, 16, 1
	s_delay_alu instid0(VALU_DEP_3) | instskip(SKIP_1) | instid1(VALU_DEP_3)
	v_max_num_f32_e64 v16, |v16|, |v16|
	v_cmp_u_f32_e64 s10, v13, v13
	v_add3_u32 v14, v12, v14, 0x7fff
	s_delay_alu instid0(VALU_DEP_3) | instskip(NEXT) | instid1(VALU_DEP_2)
	v_max_num_f32_e32 v16, v18, v16
	v_and_b32_e32 v14, 0xffff0000, v14
	s_delay_alu instid0(VALU_DEP_2) | instskip(SKIP_1) | instid1(VALU_DEP_3)
	v_cndmask_b32_e32 v9, v16, v9, vcc_lo
	v_cmp_u_f32_e32 vcc_lo, v12, v12
	v_max_num_f32_e64 v10, |v14|, |v14|
	s_delay_alu instid0(VALU_DEP_3) | instskip(NEXT) | instid1(VALU_DEP_1)
	v_max_num_f32_e32 v14, v9, v9
	v_max_num_f32_e32 v10, v14, v10
	v_add3_u32 v14, v13, v15, 0x7fff
	s_delay_alu instid0(VALU_DEP_2) | instskip(NEXT) | instid1(VALU_DEP_2)
	v_cndmask_b32_e32 v9, v10, v9, vcc_lo
	v_and_b32_e32 v10, 0xffff0000, v14
	s_delay_alu instid0(VALU_DEP_2) | instskip(NEXT) | instid1(VALU_DEP_2)
	v_max_num_f32_e32 v12, v9, v9
	v_max_num_f32_e64 v14, |v10|, |v10|
	v_add3_u32 v10, s31, s28, v11
	s_delay_alu instid0(VALU_DEP_2) | instskip(NEXT) | instid1(VALU_DEP_2)
	v_max_num_f32_e32 v11, v12, v14
	v_cmp_le_u32_e32 vcc_lo, s11, v10
	s_delay_alu instid0(VALU_DEP_2)
	v_cndmask_b32_e64 v9, v11, v9, s10
	s_or_not1_b32 s10, vcc_lo, exec_lo
	s_branch .LBB17_50
.LBB17_57:
	s_or_b32 exec_lo, exec_lo, s29
.LBB17_58:
	s_delay_alu instid0(SALU_CYCLE_1)
	s_or_b32 exec_lo, exec_lo, s22
	ds_bpermute_b32 v4, v4, v9
	v_or_b32_e32 v10, 0x80, v3
	s_wait_dscnt 0x0
	v_cmp_lt_f32_e32 vcc_lo, v9, v4
	v_cndmask_b32_e32 v4, v9, v4, vcc_lo
	s_delay_alu instid0(VALU_DEP_1) | instskip(SKIP_1) | instid1(SALU_CYCLE_1)
	v_cndmask_b32_e64 v4, v9, v4, s0
	s_or_b32 s0, s0, s1
	s_or_b32 s0, s3, s0
	s_delay_alu instid0(SALU_CYCLE_1)
	s_or_b32 s0, s4, s0
	ds_bpermute_b32 v5, v5, v4
	s_or_b32 s0, s5, s0
	s_wait_dscnt 0x0
	v_cmp_lt_f32_e32 vcc_lo, v4, v5
	v_cndmask_b32_e32 v5, v4, v5, vcc_lo
	s_delay_alu instid0(VALU_DEP_1) | instskip(SKIP_4) | instid1(VALU_DEP_1)
	v_cndmask_b32_e64 v4, v4, v5, s1
	ds_bpermute_b32 v5, v6, v4
	s_wait_dscnt 0x0
	v_cmp_lt_f32_e32 vcc_lo, v4, v5
	v_cndmask_b32_e32 v5, v4, v5, vcc_lo
	v_cndmask_b32_e64 v4, v4, v5, s3
	ds_bpermute_b32 v5, v7, v4
	s_wait_dscnt 0x0
	v_cmp_lt_f32_e32 vcc_lo, v4, v5
	v_cndmask_b32_e32 v5, v4, v5, vcc_lo
	s_delay_alu instid0(VALU_DEP_1) | instskip(SKIP_4) | instid1(VALU_DEP_1)
	v_cndmask_b32_e64 v4, v4, v5, s4
	ds_bpermute_b32 v5, v8, v4
	s_wait_dscnt 0x0
	v_cmp_lt_f32_e32 vcc_lo, v4, v5
	v_cndmask_b32_e32 v5, v4, v5, vcc_lo
	v_cndmask_b32_e64 v4, v4, v5, s5
	ds_bpermute_b32 v5, v10, v4
	s_wait_dscnt 0x0
	v_cmp_lt_f32_e32 vcc_lo, v4, v5
	s_and_b32 vcc_lo, s8, vcc_lo
	v_cndmask_b32_e32 v4, v4, v5, vcc_lo
	s_or_b32 vcc_lo, s8, s0
	s_delay_alu instid0(VALU_DEP_1)
	v_cndmask_b32_e32 v4, v9, v4, vcc_lo
	s_and_saveexec_b32 s0, s6
; %bb.59:
	v_lshrrev_b32_e32 v5, 4, v0
	s_delay_alu instid0(VALU_DEP_1)
	v_and_b32_e32 v5, 60, v5
	ds_store_b32 v5, v4 offset:64
; %bb.60:
	s_or_b32 exec_lo, exec_lo, s0
	s_wait_dscnt 0x0
	s_barrier_signal -1
	s_barrier_wait -1
	s_and_saveexec_b32 s3, s7
	s_cbranch_execz .LBB17_62
; %bb.61:
	ds_load_b32 v4, v3 offset:64
	v_and_b32_e32 v5, 15, v2
	s_add_co_i32 s0, s28, 63
	v_or_b32_e32 v3, 32, v3
	s_lshr_b32 s1, s0, 6
	s_delay_alu instid0(VALU_DEP_2) | instskip(SKIP_4) | instid1(VALU_DEP_3)
	v_cmp_ne_u32_e32 vcc_lo, 15, v5
	v_add_nc_u32_e32 v7, 1, v5
	v_cmp_gt_u32_e64 s0, 12, v5
	v_add_co_ci_u32_e64 v6, null, 0, v2, vcc_lo
	v_cmp_gt_u32_e32 vcc_lo, 14, v5
	v_cndmask_b32_e64 v9, 0, 4, s0
	s_delay_alu instid0(VALU_DEP_3)
	v_lshlrev_b32_e32 v6, 2, v6
	v_cndmask_b32_e64 v8, 0, 2, vcc_lo
	s_wait_dscnt 0x0
	ds_bpermute_b32 v6, v6, v4
	v_add_lshl_u32 v8, v8, v2, 2
	v_add_lshl_u32 v2, v9, v2, 2
	s_wait_dscnt 0x0
	v_cmp_lt_f32_e32 vcc_lo, v4, v6
	v_cndmask_b32_e32 v6, v4, v6, vcc_lo
	v_cmp_gt_u32_e32 vcc_lo, s1, v7
	s_delay_alu instid0(VALU_DEP_2) | instskip(SKIP_3) | instid1(VALU_DEP_1)
	v_cndmask_b32_e32 v6, v4, v6, vcc_lo
	ds_bpermute_b32 v7, v8, v6
	s_wait_dscnt 0x0
	v_cmp_lt_f32_e64 s0, v6, v7
	v_dual_cndmask_b32 v7, v6, v7, s0 :: v_dual_add_nc_u32 v8, 2, v5
	s_delay_alu instid0(VALU_DEP_1) | instskip(NEXT) | instid1(VALU_DEP_1)
	v_cmp_gt_u32_e64 s0, s1, v8
	v_dual_cndmask_b32 v6, v6, v7, s0 :: v_dual_add_nc_u32 v7, 4, v5
	v_add_nc_u32_e32 v5, 8, v5
	ds_bpermute_b32 v2, v2, v6
	s_wait_dscnt 0x0
	v_cmp_lt_f32_e64 s0, v6, v2
	s_delay_alu instid0(VALU_DEP_1) | instskip(SKIP_1) | instid1(VALU_DEP_1)
	v_cndmask_b32_e64 v2, v6, v2, s0
	v_cmp_gt_u32_e64 s0, s1, v7
	v_cndmask_b32_e64 v2, v6, v2, s0
	v_cmp_gt_u32_e64 s0, s1, v5
	ds_bpermute_b32 v3, v3, v2
	s_wait_dscnt 0x0
	v_cmp_lt_f32_e64 s1, v2, v3
	s_and_b32 s0, s0, s1
	s_delay_alu instid0(SALU_CYCLE_1) | instskip(NEXT) | instid1(VALU_DEP_1)
	v_cndmask_b32_e64 v2, v2, v3, s0
	v_cndmask_b32_e32 v4, v4, v2, vcc_lo
.LBB17_62:
	s_or_b32 exec_lo, exec_lo, s3
	s_and_saveexec_b32 s0, s9
	s_cbranch_execz .LBB17_66
; %bb.63:
	s_cmp_eq_u64 s[20:21], 0
	s_cbranch_scc1 .LBB17_65
; %bb.64:
	v_dual_mov_b32 v2, 0 :: v_dual_max_num_f32 v3, v4, v4
	global_load_b32 v2, v2, s[20:21]
	s_wait_loadcnt 0x0
	v_max_num_f32_e32 v2, v2, v2
	s_delay_alu instid0(VALU_DEP_1)
	v_min_num_f32_e32 v4, v3, v2
.LBB17_65:
	s_delay_alu instid0(VALU_DEP_1)
	v_div_scale_f32 v2, null, 0x42fe0000, 0x42fe0000, v4
	v_div_scale_f32 v6, vcc_lo, v4, 0x42fe0000, v4
	s_lshl_b64 s[4:5], s[26:27], 2
	v_rcp_f32_e32 v3, v2
	s_add_nc_u64 s[4:5], s[14:15], s[4:5]
	v_nop
	s_delay_alu instid0(TRANS32_DEP_1) | instskip(NEXT) | instid1(VALU_DEP_1)
	v_fma_f32 v5, -v2, v3, 1.0
	v_fmac_f32_e32 v3, v5, v3
	s_delay_alu instid0(VALU_DEP_1) | instskip(NEXT) | instid1(VALU_DEP_1)
	v_mul_f32_e32 v5, v6, v3
	v_fma_f32 v7, -v2, v5, v6
	s_delay_alu instid0(VALU_DEP_1) | instskip(NEXT) | instid1(VALU_DEP_1)
	v_fmac_f32_e32 v5, v7, v3
	v_fma_f32 v2, -v2, v5, v6
	s_delay_alu instid0(VALU_DEP_1) | instskip(SKIP_1) | instid1(VALU_DEP_2)
	v_div_fmas_f32 v2, v2, v3, v5
	v_mov_b32_e32 v3, 0
	v_div_fixup_f32 v2, v2, 0x42fe0000, v4
	s_delay_alu instid0(VALU_DEP_1)
	v_max_num_f32_e32 v2, 0x34000000, v2
	ds_store_b32 v3, v2 offset:260
	global_store_b32 v3, v2, s[4:5]
.LBB17_66:
	s_wait_xcnt 0x0
	s_or_b32 exec_lo, exec_lo, s0
	s_wait_storecnt_dscnt 0x0
	s_barrier_signal -1
	s_barrier_wait -1
	s_and_saveexec_b32 s0, s2
	s_cbranch_execz .LBB17_75
; %bb.67:
	v_mov_b32_e32 v2, 0
	s_add_nc_u64 s[0:1], s[12:13], s[24:25]
	s_lshl_b32 s2, s28, 1
	s_mul_i32 s3, s28, 3
	s_mov_b32 s4, 0
	ds_load_b32 v2, v2 offset:260
	s_add_co_i32 s5, s28, s28
                                        ; implicit-def: $sgpr6
	s_wait_dscnt 0x0
	v_div_scale_f32 v3, null, v2, v2, 1.0
	v_div_scale_f32 v6, vcc_lo, 1.0, v2, 1.0
	s_delay_alu instid0(VALU_DEP_2)
	v_rcp_f32_e32 v4, v3
	v_nop
	v_xor_b32_e32 v3, 0x80000000, v3
	s_delay_alu instid0(TRANS32_DEP_1) | instid1(VALU_DEP_1)
	v_fma_f32 v5, v3, v4, 1.0
	s_delay_alu instid0(VALU_DEP_1) | instskip(NEXT) | instid1(VALU_DEP_1)
	v_fmac_f32_e32 v4, v5, v4
	v_mul_f32_e32 v5, v6, v4
	s_delay_alu instid0(VALU_DEP_1) | instskip(NEXT) | instid1(VALU_DEP_1)
	v_fma_f32 v7, v3, v5, v6
	v_fmac_f32_e32 v5, v7, v4
	s_delay_alu instid0(VALU_DEP_1) | instskip(NEXT) | instid1(VALU_DEP_1)
	v_fmac_f32_e32 v6, v3, v5
	v_div_fmas_f32 v3, v6, v4, v5
	s_delay_alu instid0(VALU_DEP_1)
	v_div_fixup_f32 v2, v3, v2, 1.0
	s_branch .LBB17_71
.LBB17_68:                              ;   in Loop: Header=BB17_71 Depth=1
	s_wait_xcnt 0x0
	s_or_b32 exec_lo, exec_lo, s9
	s_delay_alu instid0(SALU_CYCLE_1)
	s_or_not1_b32 s9, s10, exec_lo
.LBB17_69:                              ;   in Loop: Header=BB17_71 Depth=1
	s_or_b32 exec_lo, exec_lo, s8
	s_delay_alu instid0(SALU_CYCLE_1) | instskip(SKIP_1) | instid1(SALU_CYCLE_1)
	s_and_not1_b32 s6, s6, exec_lo
	s_and_b32 s8, s9, exec_lo
	s_or_b32 s6, s6, s8
.LBB17_70:                              ;   in Loop: Header=BB17_71 Depth=1
	s_or_b32 exec_lo, exec_lo, s7
	s_delay_alu instid0(SALU_CYCLE_1) | instskip(NEXT) | instid1(SALU_CYCLE_1)
	s_and_b32 s7, exec_lo, s6
	s_or_b32 s4, s7, s4
	s_delay_alu instid0(SALU_CYCLE_1)
	s_and_not1_b32 exec_lo, exec_lo, s4
	s_cbranch_execz .LBB17_75
.LBB17_71:                              ; =>This Inner Loop Header: Depth=1
	s_clause 0x1
	global_load_b64 v[4:5], v0, s[16:17] scale_offset
	global_load_b64 v[6:7], v0, s[18:19] scale_offset
	s_or_b32 s6, s6, exec_lo
	s_mov_b32 s7, exec_lo
	s_wait_loadcnt 0x1
	v_alignbit_b32 v3, v5, v4, 16
	v_and_b32_e32 v8, 0xffff0000, v4
	s_wait_loadcnt 0x0
	v_dual_lshlrev_b32 v4, 16, v4 :: v_dual_lshlrev_b32 v10, 16, v6
	v_and_b32_e32 v5, 0xffff0000, v5
	v_and_b32_e32 v3, 0xffff0000, v3
	v_mul_f32_e32 v8, v1, v8
	s_delay_alu instid0(VALU_DEP_4) | instskip(SKIP_1) | instid1(VALU_DEP_4)
	v_mul_f32_e32 v4, v1, v4
	v_and_b32_e32 v9, 0xffff0000, v6
	v_dual_mul_f32 v5, v1, v5 :: v_dual_mul_f32 v3, v1, v3
	v_alignbit_b32 v6, v7, v6, 16
	s_delay_alu instid0(VALU_DEP_4)
	v_bfe_u32 v11, v4, 16, 1
	v_bfe_u32 v12, v8, 16, 1
	v_cmp_o_f32_e32 vcc_lo, v4, v4
	v_bfe_u32 v13, v3, 16, 1
	v_bfe_u32 v14, v5, 16, 1
	v_add3_u32 v11, v4, v11, 0x7fff
	v_add3_u32 v12, v8, v12, 0x7fff
	v_and_b32_e32 v6, 0xffff0000, v6
	v_add3_u32 v13, v3, v13, 0x7fff
	v_add3_u32 v14, v5, v14, 0x7fff
	v_and_b32_e32 v11, 0xffff0000, v11
	v_and_b32_e32 v12, 0xffff0000, v12
	;; [unrolled: 1-line block ×5, first 2 shown]
	v_cndmask_b32_e32 v4, 0x7fc00000, v11, vcc_lo
	v_cmp_o_f32_e32 vcc_lo, v3, v3
	s_delay_alu instid0(VALU_DEP_4) | instskip(SKIP_1) | instid1(VALU_DEP_2)
	v_cndmask_b32_e32 v3, 0x7fc00000, v13, vcc_lo
	v_cmp_o_f32_e32 vcc_lo, v8, v8
	v_dual_mul_f32 v3, v3, v6 :: v_dual_cndmask_b32 v8, 0x7fc00000, v12
	v_cmp_o_f32_e32 vcc_lo, v5, v5
	v_mul_f32_e32 v4, v4, v10
	v_cndmask_b32_e32 v5, 0x7fc00000, v14, vcc_lo
	s_delay_alu instid0(VALU_DEP_4) | instskip(NEXT) | instid1(VALU_DEP_2)
	v_cmp_o_f32_e32 vcc_lo, v3, v3
	v_dual_mul_f32 v5, v5, v7 :: v_dual_mul_f32 v6, v8, v9
	v_bfe_u32 v7, v3, 16, 1
	v_bfe_u32 v8, v4, 16, 1
	s_delay_alu instid0(VALU_DEP_3) | instskip(NEXT) | instid1(VALU_DEP_4)
	v_bfe_u32 v10, v5, 16, 1
	v_bfe_u32 v9, v6, 16, 1
	s_delay_alu instid0(VALU_DEP_4) | instskip(NEXT) | instid1(VALU_DEP_4)
	v_add3_u32 v7, v3, v7, 0x7fff
	v_add3_u32 v8, v4, v8, 0x7fff
	s_delay_alu instid0(VALU_DEP_4) | instskip(NEXT) | instid1(VALU_DEP_4)
	v_add3_u32 v10, v5, v10, 0x7fff
	v_add3_u32 v9, v6, v9, 0x7fff
	s_delay_alu instid0(VALU_DEP_4) | instskip(NEXT) | instid1(VALU_DEP_4)
	v_and_b32_e32 v7, 0xffff0000, v7
	v_and_b32_e32 v8, 0xffff0000, v8
	s_delay_alu instid0(VALU_DEP_4) | instskip(NEXT) | instid1(VALU_DEP_4)
	v_and_b32_e32 v10, 0xffff0000, v10
	v_and_b32_e32 v9, 0xffff0000, v9
	s_delay_alu instid0(VALU_DEP_4) | instskip(SKIP_1) | instid1(VALU_DEP_3)
	v_cndmask_b32_e32 v3, 0x7fc00000, v7, vcc_lo
	v_cmp_o_f32_e32 vcc_lo, v6, v6
	v_cndmask_b32_e32 v6, 0x7fc00000, v9, vcc_lo
	v_cmp_o_f32_e32 vcc_lo, v4, v4
	s_delay_alu instid0(VALU_DEP_2) | instskip(SKIP_2) | instid1(VALU_DEP_3)
	v_dual_mul_f32 v6, v2, v6 :: v_dual_mul_f32 v3, v2, v3
	v_cndmask_b32_e32 v4, 0x7fc00000, v8, vcc_lo
	v_cmp_o_f32_e32 vcc_lo, v5, v5
	v_rndne_f32_e32 v6, v6
	s_delay_alu instid0(VALU_DEP_4) | instskip(SKIP_1) | instid1(VALU_DEP_2)
	v_rndne_f32_e32 v3, v3
	v_cndmask_b32_e32 v5, 0x7fc00000, v10, vcc_lo
	v_cmp_nlt_f32_e32 vcc_lo, 0x42fe0000, v3
	s_delay_alu instid0(VALU_DEP_2) | instskip(SKIP_2) | instid1(VALU_DEP_3)
	v_dual_mul_f32 v5, v2, v5 :: v_dual_mul_f32 v4, v2, v4
	v_cndmask_b32_e32 v7, 0x42fe0000, v3, vcc_lo
	v_cmp_nlt_f32_e32 vcc_lo, 0x42fe0000, v6
	v_rndne_f32_e32 v5, v5
	s_delay_alu instid0(VALU_DEP_4) | instskip(SKIP_4) | instid1(VALU_DEP_2)
	v_rndne_f32_e32 v4, v4
	v_cndmask_b32_e32 v8, 0x42fe0000, v6, vcc_lo
	v_cmp_ngt_f32_e32 vcc_lo, 0xc3000000, v3
	v_cndmask_b32_e32 v3, 0xc3000000, v7, vcc_lo
	v_cmp_nlt_f32_e32 vcc_lo, 0x42fe0000, v5
	v_cvt_i32_f32_e32 v3, v3
	v_cndmask_b32_e32 v7, 0x42fe0000, v5, vcc_lo
	v_cmp_ngt_f32_e32 vcc_lo, 0xc3000000, v6
	s_delay_alu instid0(VALU_DEP_3) | instskip(NEXT) | instid1(VALU_DEP_1)
	v_and_b32_e32 v3, 0xff, v3
	v_dual_cndmask_b32 v6, 0xc3000000, v8 :: v_dual_lshlrev_b32 v3, 16, v3
	v_cmp_nlt_f32_e32 vcc_lo, 0x42fe0000, v4
	s_delay_alu instid0(VALU_DEP_2) | instskip(SKIP_2) | instid1(VALU_DEP_3)
	v_cvt_i32_f32_e32 v6, v6
	v_cndmask_b32_e32 v8, 0x42fe0000, v4, vcc_lo
	v_cmp_ngt_f32_e32 vcc_lo, 0xc3000000, v5
	v_and_b32_e32 v6, 0xff, v6
	v_cndmask_b32_e32 v5, 0xc3000000, v7, vcc_lo
	v_cmp_ngt_f32_e32 vcc_lo, 0xc3000000, v4
	s_delay_alu instid0(VALU_DEP_3) | instskip(NEXT) | instid1(VALU_DEP_3)
	v_lshlrev_b32_e32 v6, 8, v6
	v_cvt_i32_f32_e32 v5, v5
	v_cndmask_b32_e32 v4, 0xc3000000, v8, vcc_lo
	s_delay_alu instid0(VALU_DEP_2) | instskip(NEXT) | instid1(VALU_DEP_2)
	v_lshl_or_b32 v5, v5, 24, v3
	v_cvt_i32_f32_e32 v4, v4
	v_add_nc_u32_e32 v3, s28, v0
	s_delay_alu instid0(VALU_DEP_2) | instskip(NEXT) | instid1(VALU_DEP_1)
	v_and_b32_e32 v4, 0xff, v4
	v_or3_b32 v4, v5, v6, v4
	global_store_b32 v0, v4, s[0:1] scale_offset
	s_wait_xcnt 0x0
	v_cmpx_gt_u32_e64 s11, v3
	s_cbranch_execz .LBB17_70
; %bb.72:                               ;   in Loop: Header=BB17_71 Depth=1
	s_clause 0x1
	global_load_b64 v[4:5], v3, s[16:17] scale_offset
	global_load_b64 v[6:7], v3, s[18:19] scale_offset
	s_mov_b32 s9, -1
	s_mov_b32 s8, exec_lo
	s_wait_loadcnt 0x1
	v_alignbit_b32 v8, v5, v4, 16
	v_and_b32_e32 v9, 0xffff0000, v4
	s_wait_loadcnt 0x0
	v_dual_lshlrev_b32 v4, 16, v4 :: v_dual_lshlrev_b32 v11, 16, v6
	v_and_b32_e32 v5, 0xffff0000, v5
	v_and_b32_e32 v8, 0xffff0000, v8
	s_delay_alu instid0(VALU_DEP_3) | instskip(SKIP_2) | instid1(VALU_DEP_4)
	v_dual_mul_f32 v9, v1, v9 :: v_dual_mul_f32 v4, v1, v4
	v_and_b32_e32 v10, 0xffff0000, v6
	v_alignbit_b32 v6, v7, v6, 16
	v_dual_mul_f32 v8, v1, v8 :: v_dual_mul_f32 v5, v1, v5
	s_delay_alu instid0(VALU_DEP_4) | instskip(SKIP_2) | instid1(VALU_DEP_4)
	v_bfe_u32 v12, v4, 16, 1
	v_bfe_u32 v13, v9, 16, 1
	v_cmp_o_f32_e32 vcc_lo, v4, v4
	v_bfe_u32 v14, v8, 16, 1
	v_bfe_u32 v15, v5, 16, 1
	v_add3_u32 v12, v4, v12, 0x7fff
	v_and_b32_e32 v7, 0xffff0000, v7
	v_add3_u32 v13, v9, v13, 0x7fff
	v_add3_u32 v14, v8, v14, 0x7fff
	;; [unrolled: 1-line block ×3, first 2 shown]
	v_and_b32_e32 v12, 0xffff0000, v12
	v_and_b32_e32 v6, 0xffff0000, v6
	;; [unrolled: 1-line block ×5, first 2 shown]
	v_cndmask_b32_e32 v4, 0x7fc00000, v12, vcc_lo
	v_cmp_o_f32_e32 vcc_lo, v8, v8
	s_delay_alu instid0(VALU_DEP_4) | instskip(SKIP_1) | instid1(VALU_DEP_2)
	v_cndmask_b32_e32 v8, 0x7fc00000, v14, vcc_lo
	v_cmp_o_f32_e32 vcc_lo, v9, v9
	v_dual_mul_f32 v6, v8, v6 :: v_dual_cndmask_b32 v9, 0x7fc00000, v13
	v_cmp_o_f32_e32 vcc_lo, v5, v5
	s_delay_alu instid0(VALU_DEP_2) | instskip(NEXT) | instid1(VALU_DEP_3)
	v_dual_mul_f32 v8, v9, v10 :: v_dual_cndmask_b32 v5, 0x7fc00000, v15
	v_cmp_o_f32_e32 vcc_lo, v6, v6
	s_delay_alu instid0(VALU_DEP_2) | instskip(NEXT) | instid1(VALU_DEP_3)
	v_bfe_u32 v10, v8, 16, 1
	v_mul_f32_e32 v5, v5, v7
	v_bfe_u32 v7, v6, 16, 1
	s_delay_alu instid0(VALU_DEP_3) | instskip(NEXT) | instid1(VALU_DEP_2)
	v_add3_u32 v10, v8, v10, 0x7fff
	v_add3_u32 v7, v6, v7, 0x7fff
	s_delay_alu instid0(VALU_DEP_2) | instskip(NEXT) | instid1(VALU_DEP_2)
	v_and_b32_e32 v10, 0xffff0000, v10
	v_and_b32_e32 v7, 0xffff0000, v7
	s_delay_alu instid0(VALU_DEP_1) | instskip(SKIP_4) | instid1(VALU_DEP_3)
	v_cndmask_b32_e32 v6, 0x7fc00000, v7, vcc_lo
	v_cmp_o_f32_e32 vcc_lo, v8, v8
	v_mul_f32_e32 v4, v4, v11
	v_bfe_u32 v11, v5, 16, 1
	v_cndmask_b32_e32 v7, 0x7fc00000, v10, vcc_lo
	v_bfe_u32 v9, v4, 16, 1
	s_delay_alu instid0(VALU_DEP_3) | instskip(SKIP_1) | instid1(VALU_DEP_4)
	v_add3_u32 v11, v5, v11, 0x7fff
	v_cmp_o_f32_e32 vcc_lo, v4, v4
	v_mul_f32_e32 v7, v2, v7
	s_delay_alu instid0(VALU_DEP_4) | instskip(NEXT) | instid1(VALU_DEP_4)
	v_add3_u32 v9, v4, v9, 0x7fff
	v_and_b32_e32 v11, 0xffff0000, v11
	s_delay_alu instid0(VALU_DEP_3) | instskip(NEXT) | instid1(VALU_DEP_3)
	v_rndne_f32_e32 v7, v7
	v_and_b32_e32 v9, 0xffff0000, v9
	s_delay_alu instid0(VALU_DEP_1) | instskip(SKIP_2) | instid1(VALU_DEP_1)
	v_cndmask_b32_e32 v4, 0x7fc00000, v9, vcc_lo
	v_cmp_o_f32_e32 vcc_lo, v5, v5
	v_cndmask_b32_e32 v5, 0x7fc00000, v11, vcc_lo
	v_dual_mul_f32 v5, v2, v5 :: v_dual_mul_f32 v6, v2, v6
	s_delay_alu instid0(VALU_DEP_1) | instskip(NEXT) | instid1(VALU_DEP_2)
	v_rndne_f32_e32 v5, v5
	v_rndne_f32_e32 v6, v6
	s_delay_alu instid0(VALU_DEP_1) | instskip(SKIP_4) | instid1(VALU_DEP_4)
	v_cmp_nlt_f32_e32 vcc_lo, 0x42fe0000, v6
	v_cndmask_b32_e32 v8, 0x42fe0000, v6, vcc_lo
	v_cmp_nlt_f32_e32 vcc_lo, 0x42fe0000, v7
	v_cndmask_b32_e32 v9, 0x42fe0000, v7, vcc_lo
	v_cmp_ngt_f32_e32 vcc_lo, 0xc3000000, v6
	v_cndmask_b32_e32 v6, 0xc3000000, v8, vcc_lo
	v_cmp_nlt_f32_e32 vcc_lo, 0x42fe0000, v5
	s_delay_alu instid0(VALU_DEP_2) | instskip(SKIP_2) | instid1(VALU_DEP_3)
	v_cvt_i32_f32_e32 v6, v6
	v_cndmask_b32_e32 v8, 0x42fe0000, v5, vcc_lo
	v_cmp_ngt_f32_e32 vcc_lo, 0xc3000000, v7
	v_and_b32_e32 v6, 0xff, v6
	s_delay_alu instid0(VALU_DEP_1) | instskip(NEXT) | instid1(VALU_DEP_1)
	v_dual_cndmask_b32 v7, 0xc3000000, v9 :: v_dual_lshlrev_b32 v6, 16, v6
	v_cvt_i32_f32_e32 v7, v7
	s_delay_alu instid0(VALU_DEP_1) | instskip(NEXT) | instid1(VALU_DEP_1)
	v_and_b32_e32 v7, 0xff, v7
	v_dual_mul_f32 v4, v2, v4 :: v_dual_lshlrev_b32 v7, 8, v7
	s_delay_alu instid0(VALU_DEP_1) | instskip(NEXT) | instid1(VALU_DEP_1)
	v_rndne_f32_e32 v4, v4
	v_cmp_nlt_f32_e32 vcc_lo, 0x42fe0000, v4
	v_cndmask_b32_e32 v9, 0x42fe0000, v4, vcc_lo
	v_cmp_ngt_f32_e32 vcc_lo, 0xc3000000, v5
	v_cndmask_b32_e32 v5, 0xc3000000, v8, vcc_lo
	v_cmp_ngt_f32_e32 vcc_lo, 0xc3000000, v4
	s_delay_alu instid0(VALU_DEP_2) | instskip(SKIP_1) | instid1(VALU_DEP_2)
	v_cvt_i32_f32_e32 v5, v5
	v_cndmask_b32_e32 v4, 0xc3000000, v9, vcc_lo
	v_lshl_or_b32 v6, v5, 24, v6
	s_delay_alu instid0(VALU_DEP_2) | instskip(SKIP_1) | instid1(VALU_DEP_2)
	v_cvt_i32_f32_e32 v4, v4
	v_add_nc_u32_e32 v5, s2, v0
	v_and_b32_e32 v4, 0xff, v4
	s_delay_alu instid0(VALU_DEP_1)
	v_or3_b32 v4, v6, v7, v4
	global_store_b32 v3, v4, s[0:1] scale_offset
	s_wait_xcnt 0x0
	v_cmpx_gt_u32_e64 s11, v5
	s_cbranch_execz .LBB17_69
; %bb.73:                               ;   in Loop: Header=BB17_71 Depth=1
	s_clause 0x1
	global_load_b64 v[6:7], v5, s[16:17] scale_offset
	global_load_b64 v[8:9], v5, s[18:19] scale_offset
	s_mov_b32 s10, -1
	s_mov_b32 s9, exec_lo
	s_wait_loadcnt 0x1
	v_alignbit_b32 v4, v7, v6, 16
	v_and_b32_e32 v10, 0xffff0000, v6
	s_wait_loadcnt 0x0
	v_dual_lshlrev_b32 v6, 16, v6 :: v_dual_lshlrev_b32 v12, 16, v8
	v_and_b32_e32 v7, 0xffff0000, v7
	v_and_b32_e32 v4, 0xffff0000, v4
	v_mul_f32_e32 v10, v1, v10
	s_delay_alu instid0(VALU_DEP_4) | instskip(SKIP_1) | instid1(VALU_DEP_4)
	v_mul_f32_e32 v6, v1, v6
	v_and_b32_e32 v11, 0xffff0000, v8
	v_dual_mul_f32 v7, v1, v7 :: v_dual_mul_f32 v4, v1, v4
	s_delay_alu instid0(VALU_DEP_4) | instskip(NEXT) | instid1(VALU_DEP_4)
	v_bfe_u32 v14, v10, 16, 1
	v_bfe_u32 v13, v6, 16, 1
	v_cmp_o_f32_e32 vcc_lo, v6, v6
	s_delay_alu instid0(VALU_DEP_4)
	v_bfe_u32 v16, v7, 16, 1
	v_bfe_u32 v15, v4, 16, 1
	v_add3_u32 v14, v10, v14, 0x7fff
	v_add3_u32 v13, v6, v13, 0x7fff
	v_alignbit_b32 v8, v9, v8, 16
	v_and_b32_e32 v9, 0xffff0000, v9
	v_add3_u32 v15, v4, v15, 0x7fff
	v_add3_u32 v16, v7, v16, 0x7fff
	v_and_b32_e32 v13, 0xffff0000, v13
	v_and_b32_e32 v14, 0xffff0000, v14
	;; [unrolled: 1-line block ×5, first 2 shown]
	v_cndmask_b32_e32 v6, 0x7fc00000, v13, vcc_lo
	v_cmp_o_f32_e32 vcc_lo, v4, v4
	s_delay_alu instid0(VALU_DEP_2)
	v_mul_f32_e32 v6, v6, v12
	v_cndmask_b32_e32 v4, 0x7fc00000, v15, vcc_lo
	v_cmp_o_f32_e32 vcc_lo, v10, v10
	v_cndmask_b32_e32 v10, 0x7fc00000, v14, vcc_lo
	v_cmp_o_f32_e32 vcc_lo, v7, v7
	v_cndmask_b32_e32 v7, 0x7fc00000, v16, vcc_lo
	s_delay_alu instid0(VALU_DEP_1) | instskip(NEXT) | instid1(VALU_DEP_4)
	v_dual_mul_f32 v7, v7, v9 :: v_dual_mul_f32 v4, v4, v8
	v_mul_f32_e32 v8, v10, v11
	v_bfe_u32 v10, v6, 16, 1
	s_delay_alu instid0(VALU_DEP_3) | instskip(NEXT) | instid1(VALU_DEP_4)
	v_bfe_u32 v12, v7, 16, 1
	v_bfe_u32 v9, v4, 16, 1
	s_delay_alu instid0(VALU_DEP_4)
	v_bfe_u32 v11, v8, 16, 1
	v_cmp_o_f32_e32 vcc_lo, v4, v4
	v_add3_u32 v10, v6, v10, 0x7fff
	v_add3_u32 v12, v7, v12, 0x7fff
	v_add3_u32 v9, v4, v9, 0x7fff
	v_add3_u32 v11, v8, v11, 0x7fff
	s_delay_alu instid0(VALU_DEP_4) | instskip(NEXT) | instid1(VALU_DEP_4)
	v_and_b32_e32 v10, 0xffff0000, v10
	v_and_b32_e32 v12, 0xffff0000, v12
	s_delay_alu instid0(VALU_DEP_4) | instskip(NEXT) | instid1(VALU_DEP_4)
	v_and_b32_e32 v9, 0xffff0000, v9
	v_and_b32_e32 v11, 0xffff0000, v11
	s_delay_alu instid0(VALU_DEP_2) | instskip(SKIP_1) | instid1(VALU_DEP_3)
	v_cndmask_b32_e32 v4, 0x7fc00000, v9, vcc_lo
	v_cmp_o_f32_e32 vcc_lo, v8, v8
	v_cndmask_b32_e32 v8, 0x7fc00000, v11, vcc_lo
	v_cmp_o_f32_e32 vcc_lo, v6, v6
	s_delay_alu instid0(VALU_DEP_2) | instskip(SKIP_3) | instid1(VALU_DEP_4)
	v_mul_f32_e32 v8, v2, v8
	v_cndmask_b32_e32 v6, 0x7fc00000, v10, vcc_lo
	v_mul_f32_e32 v4, v2, v4
	v_cmp_o_f32_e32 vcc_lo, v7, v7
	v_rndne_f32_e32 v8, v8
	s_delay_alu instid0(VALU_DEP_4) | instskip(NEXT) | instid1(VALU_DEP_4)
	v_mul_f32_e32 v6, v2, v6
	v_rndne_f32_e32 v4, v4
	v_cndmask_b32_e32 v7, 0x7fc00000, v12, vcc_lo
	s_delay_alu instid0(VALU_DEP_3) | instskip(NEXT) | instid1(VALU_DEP_3)
	v_rndne_f32_e32 v6, v6
	v_cmp_nlt_f32_e32 vcc_lo, 0x42fe0000, v4
	s_delay_alu instid0(VALU_DEP_3) | instskip(SKIP_2) | instid1(VALU_DEP_3)
	v_mul_f32_e32 v7, v2, v7
	v_cndmask_b32_e32 v9, 0x42fe0000, v4, vcc_lo
	v_cmp_nlt_f32_e32 vcc_lo, 0x42fe0000, v8
	v_rndne_f32_e32 v7, v7
	v_cndmask_b32_e32 v10, 0x42fe0000, v8, vcc_lo
	v_cmp_ngt_f32_e32 vcc_lo, 0xc3000000, v4
	v_cndmask_b32_e32 v4, 0xc3000000, v9, vcc_lo
	s_delay_alu instid0(VALU_DEP_4) | instskip(NEXT) | instid1(VALU_DEP_2)
	v_cmp_nlt_f32_e32 vcc_lo, 0x42fe0000, v7
	v_cvt_i32_f32_e32 v4, v4
	v_cndmask_b32_e32 v9, 0x42fe0000, v7, vcc_lo
	v_cmp_ngt_f32_e32 vcc_lo, 0xc3000000, v8
	s_delay_alu instid0(VALU_DEP_3) | instskip(SKIP_2) | instid1(VALU_DEP_3)
	v_and_b32_e32 v4, 0xff, v4
	v_cndmask_b32_e32 v8, 0xc3000000, v10, vcc_lo
	v_cmp_nlt_f32_e32 vcc_lo, 0x42fe0000, v6
	v_lshlrev_b32_e32 v4, 16, v4
	s_delay_alu instid0(VALU_DEP_3) | instskip(SKIP_2) | instid1(VALU_DEP_3)
	v_cvt_i32_f32_e32 v8, v8
	v_cndmask_b32_e32 v10, 0x42fe0000, v6, vcc_lo
	v_cmp_ngt_f32_e32 vcc_lo, 0xc3000000, v7
	v_and_b32_e32 v8, 0xff, v8
	s_delay_alu instid0(VALU_DEP_1) | instskip(SKIP_1) | instid1(VALU_DEP_2)
	v_dual_cndmask_b32 v7, 0xc3000000, v9 :: v_dual_lshlrev_b32 v8, 8, v8
	v_cmp_ngt_f32_e32 vcc_lo, 0xc3000000, v6
	v_cvt_i32_f32_e32 v7, v7
	v_cndmask_b32_e32 v6, 0xc3000000, v10, vcc_lo
	s_delay_alu instid0(VALU_DEP_2) | instskip(NEXT) | instid1(VALU_DEP_2)
	v_lshl_or_b32 v7, v7, 24, v4
	v_cvt_i32_f32_e32 v6, v6
	v_add_nc_u32_e32 v4, s3, v0
	s_delay_alu instid0(VALU_DEP_2) | instskip(NEXT) | instid1(VALU_DEP_1)
	v_and_b32_e32 v6, 0xff, v6
	v_or3_b32 v0, v7, v8, v6
	global_store_b32 v5, v0, s[0:1] scale_offset
                                        ; implicit-def: $vgpr0
	s_wait_xcnt 0x0
	v_cmpx_gt_u32_e64 s11, v4
	s_cbranch_execz .LBB17_68
; %bb.74:                               ;   in Loop: Header=BB17_71 Depth=1
	s_clause 0x1
	global_load_b64 v[6:7], v4, s[16:17] scale_offset
	global_load_b64 v[8:9], v4, s[18:19] scale_offset
	s_wait_loadcnt 0x1
	v_alignbit_b32 v0, v7, v6, 16
	v_and_b32_e32 v5, 0xffff0000, v6
	s_wait_loadcnt 0x0
	v_dual_lshlrev_b32 v6, 16, v6 :: v_dual_lshlrev_b32 v11, 16, v8
	v_and_b32_e32 v7, 0xffff0000, v7
	v_and_b32_e32 v0, 0xffff0000, v0
	s_delay_alu instid0(VALU_DEP_3) | instskip(SKIP_2) | instid1(VALU_DEP_4)
	v_dual_mul_f32 v5, v1, v5 :: v_dual_mul_f32 v6, v1, v6
	v_and_b32_e32 v10, 0xffff0000, v8
	v_alignbit_b32 v8, v9, v8, 16
	v_dual_mul_f32 v0, v1, v0 :: v_dual_mul_f32 v7, v1, v7
	s_delay_alu instid0(VALU_DEP_4) | instskip(SKIP_2) | instid1(VALU_DEP_4)
	v_bfe_u32 v12, v6, 16, 1
	v_bfe_u32 v13, v5, 16, 1
	v_cmp_o_f32_e32 vcc_lo, v6, v6
	v_bfe_u32 v14, v0, 16, 1
	v_bfe_u32 v15, v7, 16, 1
	v_add3_u32 v12, v6, v12, 0x7fff
	v_add3_u32 v13, v5, v13, 0x7fff
	v_and_b32_e32 v9, 0xffff0000, v9
	v_add3_u32 v14, v0, v14, 0x7fff
	v_add3_u32 v15, v7, v15, 0x7fff
	v_and_b32_e32 v12, 0xffff0000, v12
	v_and_b32_e32 v13, 0xffff0000, v13
	v_and_b32_e32 v8, 0xffff0000, v8
	v_and_b32_e32 v14, 0xffff0000, v14
	v_and_b32_e32 v15, 0xffff0000, v15
	v_cndmask_b32_e32 v6, 0x7fc00000, v12, vcc_lo
	v_cmp_o_f32_e32 vcc_lo, v0, v0
	s_delay_alu instid0(VALU_DEP_4) | instskip(SKIP_4) | instid1(VALU_DEP_1)
	v_cndmask_b32_e32 v0, 0x7fc00000, v14, vcc_lo
	v_cmp_o_f32_e32 vcc_lo, v5, v5
	v_cndmask_b32_e32 v5, 0x7fc00000, v13, vcc_lo
	v_cmp_o_f32_e32 vcc_lo, v7, v7
	v_cndmask_b32_e32 v7, 0x7fc00000, v15, vcc_lo
	v_dual_mul_f32 v7, v7, v9 :: v_dual_mul_f32 v0, v0, v8
	s_delay_alu instid0(VALU_DEP_4) | instskip(NEXT) | instid1(VALU_DEP_2)
	v_mul_f32_e32 v5, v5, v10
	v_bfe_u32 v8, v0, 16, 1
	s_delay_alu instid0(VALU_DEP_2) | instskip(SKIP_1) | instid1(VALU_DEP_3)
	v_bfe_u32 v10, v5, 16, 1
	v_cmp_o_f32_e32 vcc_lo, v0, v0
	v_add3_u32 v8, v0, v8, 0x7fff
	s_delay_alu instid0(VALU_DEP_3) | instskip(NEXT) | instid1(VALU_DEP_2)
	v_add3_u32 v10, v5, v10, 0x7fff
	v_and_b32_e32 v8, 0xffff0000, v8
	s_delay_alu instid0(VALU_DEP_2) | instskip(NEXT) | instid1(VALU_DEP_2)
	v_and_b32_e32 v10, 0xffff0000, v10
	v_cndmask_b32_e32 v0, 0x7fc00000, v8, vcc_lo
	v_cmp_o_f32_e32 vcc_lo, v5, v5
	v_mul_f32_e32 v6, v6, v11
	v_bfe_u32 v11, v7, 16, 1
	v_cndmask_b32_e32 v5, 0x7fc00000, v10, vcc_lo
	s_delay_alu instid0(VALU_DEP_3) | instskip(NEXT) | instid1(VALU_DEP_3)
	v_bfe_u32 v9, v6, 16, 1
	v_add3_u32 v11, v7, v11, 0x7fff
	v_cmp_o_f32_e32 vcc_lo, v6, v6
	s_delay_alu instid0(VALU_DEP_4) | instskip(NEXT) | instid1(VALU_DEP_4)
	v_mul_f32_e32 v5, v2, v5
	v_add3_u32 v9, v6, v9, 0x7fff
	v_mul_f32_e32 v0, v2, v0
	v_and_b32_e32 v11, 0xffff0000, v11
	s_delay_alu instid0(VALU_DEP_4) | instskip(NEXT) | instid1(VALU_DEP_4)
	v_rndne_f32_e32 v5, v5
	v_and_b32_e32 v9, 0xffff0000, v9
	s_delay_alu instid0(VALU_DEP_4) | instskip(NEXT) | instid1(VALU_DEP_2)
	v_rndne_f32_e32 v0, v0
	v_cndmask_b32_e32 v6, 0x7fc00000, v9, vcc_lo
	v_cmp_o_f32_e32 vcc_lo, v7, v7
	v_cndmask_b32_e32 v7, 0x7fc00000, v11, vcc_lo
	s_delay_alu instid0(VALU_DEP_4) | instskip(NEXT) | instid1(VALU_DEP_2)
	v_cmp_nlt_f32_e32 vcc_lo, 0x42fe0000, v0
	v_dual_mul_f32 v7, v2, v7 :: v_dual_cndmask_b32 v8, 0x42fe0000, v0
	v_cmp_nlt_f32_e32 vcc_lo, 0x42fe0000, v5
	v_mul_f32_e32 v6, v2, v6
	s_delay_alu instid0(VALU_DEP_3) | instskip(SKIP_2) | instid1(VALU_DEP_4)
	v_rndne_f32_e32 v7, v7
	v_cndmask_b32_e32 v9, 0x42fe0000, v5, vcc_lo
	v_cmp_ngt_f32_e32 vcc_lo, 0xc3000000, v0
	v_rndne_f32_e32 v6, v6
	v_cndmask_b32_e32 v0, 0xc3000000, v8, vcc_lo
	v_cmp_nlt_f32_e32 vcc_lo, 0x42fe0000, v7
	s_delay_alu instid0(VALU_DEP_2) | instskip(SKIP_2) | instid1(VALU_DEP_3)
	v_cvt_i32_f32_e32 v0, v0
	v_cndmask_b32_e32 v8, 0x42fe0000, v7, vcc_lo
	v_cmp_ngt_f32_e32 vcc_lo, 0xc3000000, v5
	v_and_b32_e32 v0, 0xff, v0
	v_cndmask_b32_e32 v5, 0xc3000000, v9, vcc_lo
	v_cmp_nlt_f32_e32 vcc_lo, 0x42fe0000, v6
	s_delay_alu instid0(VALU_DEP_2) | instskip(SKIP_2) | instid1(VALU_DEP_3)
	v_cvt_i32_f32_e32 v5, v5
	v_cndmask_b32_e32 v9, 0x42fe0000, v6, vcc_lo
	v_cmp_ngt_f32_e32 vcc_lo, 0xc3000000, v7
	v_and_b32_e32 v5, 0xff, v5
	v_cndmask_b32_e32 v7, 0xc3000000, v8, vcc_lo
	v_cmp_ngt_f32_e32 vcc_lo, 0xc3000000, v6
	v_lshlrev_b32_e32 v8, 16, v0
	v_add3_u32 v0, s5, s28, v3
	v_lshlrev_b32_e32 v3, 8, v5
	v_cvt_i32_f32_e32 v7, v7
	v_cndmask_b32_e32 v6, 0xc3000000, v9, vcc_lo
	s_delay_alu instid0(VALU_DEP_4) | instskip(NEXT) | instid1(VALU_DEP_3)
	v_cmp_le_u32_e32 vcc_lo, s11, v0
	v_lshl_or_b32 v5, v7, 24, v8
	s_delay_alu instid0(VALU_DEP_3) | instskip(SKIP_1) | instid1(VALU_DEP_1)
	v_cvt_i32_f32_e32 v6, v6
	s_or_not1_b32 s10, vcc_lo, exec_lo
	v_and_b32_e32 v6, 0xff, v6
	s_delay_alu instid0(VALU_DEP_1)
	v_or3_b32 v3, v5, v3, v6
	global_store_b32 v4, v3, s[0:1] scale_offset
	s_branch .LBB17_68
.LBB17_75:
	s_endpgm
	.section	.rodata,"a",@progbits
	.p2align	6, 0x0
	.amdhsa_kernel _ZN4vllm39rms_norm_dynamic_per_token_quant_kernelIN3c108BFloat16EaLb0EEEvPT0_PfPKT_S8_PKffiPS6_
		.amdhsa_group_segment_fixed_size 272
		.amdhsa_private_segment_fixed_size 0
		.amdhsa_kernarg_size 312
		.amdhsa_user_sgpr_count 2
		.amdhsa_user_sgpr_dispatch_ptr 0
		.amdhsa_user_sgpr_queue_ptr 0
		.amdhsa_user_sgpr_kernarg_segment_ptr 1
		.amdhsa_user_sgpr_dispatch_id 0
		.amdhsa_user_sgpr_kernarg_preload_length 0
		.amdhsa_user_sgpr_kernarg_preload_offset 0
		.amdhsa_user_sgpr_private_segment_size 0
		.amdhsa_wavefront_size32 1
		.amdhsa_uses_dynamic_stack 0
		.amdhsa_enable_private_segment 0
		.amdhsa_system_sgpr_workgroup_id_x 1
		.amdhsa_system_sgpr_workgroup_id_y 0
		.amdhsa_system_sgpr_workgroup_id_z 0
		.amdhsa_system_sgpr_workgroup_info 0
		.amdhsa_system_vgpr_workitem_id 0
		.amdhsa_next_free_vgpr 24
		.amdhsa_next_free_sgpr 37
		.amdhsa_named_barrier_count 0
		.amdhsa_reserve_vcc 1
		.amdhsa_float_round_mode_32 0
		.amdhsa_float_round_mode_16_64 0
		.amdhsa_float_denorm_mode_32 3
		.amdhsa_float_denorm_mode_16_64 3
		.amdhsa_fp16_overflow 0
		.amdhsa_memory_ordered 1
		.amdhsa_forward_progress 1
		.amdhsa_inst_pref_size 88
		.amdhsa_round_robin_scheduling 0
		.amdhsa_exception_fp_ieee_invalid_op 0
		.amdhsa_exception_fp_denorm_src 0
		.amdhsa_exception_fp_ieee_div_zero 0
		.amdhsa_exception_fp_ieee_overflow 0
		.amdhsa_exception_fp_ieee_underflow 0
		.amdhsa_exception_fp_ieee_inexact 0
		.amdhsa_exception_int_div_zero 0
	.end_amdhsa_kernel
	.section	.text._ZN4vllm39rms_norm_dynamic_per_token_quant_kernelIN3c108BFloat16EaLb0EEEvPT0_PfPKT_S8_PKffiPS6_,"axG",@progbits,_ZN4vllm39rms_norm_dynamic_per_token_quant_kernelIN3c108BFloat16EaLb0EEEvPT0_PfPKT_S8_PKffiPS6_,comdat
.Lfunc_end17:
	.size	_ZN4vllm39rms_norm_dynamic_per_token_quant_kernelIN3c108BFloat16EaLb0EEEvPT0_PfPKT_S8_PKffiPS6_, .Lfunc_end17-_ZN4vllm39rms_norm_dynamic_per_token_quant_kernelIN3c108BFloat16EaLb0EEEvPT0_PfPKT_S8_PKffiPS6_
                                        ; -- End function
	.set _ZN4vllm39rms_norm_dynamic_per_token_quant_kernelIN3c108BFloat16EaLb0EEEvPT0_PfPKT_S8_PKffiPS6_.num_vgpr, 24
	.set _ZN4vllm39rms_norm_dynamic_per_token_quant_kernelIN3c108BFloat16EaLb0EEEvPT0_PfPKT_S8_PKffiPS6_.num_agpr, 0
	.set _ZN4vllm39rms_norm_dynamic_per_token_quant_kernelIN3c108BFloat16EaLb0EEEvPT0_PfPKT_S8_PKffiPS6_.numbered_sgpr, 37
	.set _ZN4vllm39rms_norm_dynamic_per_token_quant_kernelIN3c108BFloat16EaLb0EEEvPT0_PfPKT_S8_PKffiPS6_.num_named_barrier, 0
	.set _ZN4vllm39rms_norm_dynamic_per_token_quant_kernelIN3c108BFloat16EaLb0EEEvPT0_PfPKT_S8_PKffiPS6_.private_seg_size, 0
	.set _ZN4vllm39rms_norm_dynamic_per_token_quant_kernelIN3c108BFloat16EaLb0EEEvPT0_PfPKT_S8_PKffiPS6_.uses_vcc, 1
	.set _ZN4vllm39rms_norm_dynamic_per_token_quant_kernelIN3c108BFloat16EaLb0EEEvPT0_PfPKT_S8_PKffiPS6_.uses_flat_scratch, 0
	.set _ZN4vllm39rms_norm_dynamic_per_token_quant_kernelIN3c108BFloat16EaLb0EEEvPT0_PfPKT_S8_PKffiPS6_.has_dyn_sized_stack, 0
	.set _ZN4vllm39rms_norm_dynamic_per_token_quant_kernelIN3c108BFloat16EaLb0EEEvPT0_PfPKT_S8_PKffiPS6_.has_recursion, 0
	.set _ZN4vllm39rms_norm_dynamic_per_token_quant_kernelIN3c108BFloat16EaLb0EEEvPT0_PfPKT_S8_PKffiPS6_.has_indirect_call, 0
	.section	.AMDGPU.csdata,"",@progbits
; Kernel info:
; codeLenInByte = 11192
; TotalNumSgprs: 39
; NumVgprs: 24
; ScratchSize: 0
; MemoryBound: 0
; FloatMode: 240
; IeeeMode: 1
; LDSByteSize: 272 bytes/workgroup (compile time only)
; SGPRBlocks: 0
; VGPRBlocks: 1
; NumSGPRsForWavesPerEU: 39
; NumVGPRsForWavesPerEU: 24
; NamedBarCnt: 0
; Occupancy: 16
; WaveLimiterHint : 0
; COMPUTE_PGM_RSRC2:SCRATCH_EN: 0
; COMPUTE_PGM_RSRC2:USER_SGPR: 2
; COMPUTE_PGM_RSRC2:TRAP_HANDLER: 0
; COMPUTE_PGM_RSRC2:TGID_X_EN: 1
; COMPUTE_PGM_RSRC2:TGID_Y_EN: 0
; COMPUTE_PGM_RSRC2:TGID_Z_EN: 0
; COMPUTE_PGM_RSRC2:TIDIG_COMP_CNT: 0
	.section	.AMDGPU.gpr_maximums,"",@progbits
	.set amdgpu.max_num_vgpr, 0
	.set amdgpu.max_num_agpr, 0
	.set amdgpu.max_num_sgpr, 0
	.section	.AMDGPU.csdata,"",@progbits
	.type	__hip_cuid_8926e490298254e4,@object ; @__hip_cuid_8926e490298254e4
	.section	.bss,"aw",@nobits
	.globl	__hip_cuid_8926e490298254e4
__hip_cuid_8926e490298254e4:
	.byte	0                               ; 0x0
	.size	__hip_cuid_8926e490298254e4, 1

	.ident	"AMD clang version 22.0.0git (https://github.com/RadeonOpenCompute/llvm-project roc-7.2.4 26084 f58b06dce1f9c15707c5f808fd002e18c2accf7e)"
	.section	".note.GNU-stack","",@progbits
	.addrsig
	.addrsig_sym __hip_cuid_8926e490298254e4
	.amdgpu_metadata
---
amdhsa.kernels:
  - .args:
      - .actual_access:  write_only
        .address_space:  global
        .offset:         0
        .size:           8
        .value_kind:     global_buffer
      - .actual_access:  write_only
        .address_space:  global
        .offset:         8
        .size:           8
        .value_kind:     global_buffer
      - .actual_access:  read_only
        .address_space:  global
        .offset:         16
        .size:           8
        .value_kind:     global_buffer
      - .actual_access:  read_only
        .address_space:  global
        .offset:         24
        .size:           8
        .value_kind:     global_buffer
      - .address_space:  global
        .offset:         32
        .size:           8
        .value_kind:     global_buffer
      - .offset:         40
        .size:           4
        .value_kind:     by_value
      - .offset:         44
        .size:           4
        .value_kind:     by_value
      - .address_space:  global
        .offset:         48
        .size:           8
        .value_kind:     global_buffer
      - .offset:         56
        .size:           4
        .value_kind:     hidden_block_count_x
      - .offset:         60
        .size:           4
        .value_kind:     hidden_block_count_y
      - .offset:         64
        .size:           4
        .value_kind:     hidden_block_count_z
      - .offset:         68
        .size:           2
        .value_kind:     hidden_group_size_x
      - .offset:         70
        .size:           2
        .value_kind:     hidden_group_size_y
      - .offset:         72
        .size:           2
        .value_kind:     hidden_group_size_z
      - .offset:         74
        .size:           2
        .value_kind:     hidden_remainder_x
      - .offset:         76
        .size:           2
        .value_kind:     hidden_remainder_y
      - .offset:         78
        .size:           2
        .value_kind:     hidden_remainder_z
      - .offset:         96
        .size:           8
        .value_kind:     hidden_global_offset_x
      - .offset:         104
        .size:           8
        .value_kind:     hidden_global_offset_y
      - .offset:         112
        .size:           8
        .value_kind:     hidden_global_offset_z
      - .offset:         120
        .size:           2
        .value_kind:     hidden_grid_dims
    .group_segment_fixed_size: 272
    .kernarg_segment_align: 8
    .kernarg_segment_size: 312
    .language:       OpenCL C
    .language_version:
      - 2
      - 0
    .max_flat_workgroup_size: 1024
    .name:           _ZN4vllm39rms_norm_dynamic_per_token_quant_kernelIfN3c1013Float8_e4m3fnELb1EEEvPT0_PfPKT_S8_PKffiPS6_
    .private_segment_fixed_size: 0
    .sgpr_count:     42
    .sgpr_spill_count: 0
    .symbol:         _ZN4vllm39rms_norm_dynamic_per_token_quant_kernelIfN3c1013Float8_e4m3fnELb1EEEvPT0_PfPKT_S8_PKffiPS6_.kd
    .uniform_work_group_size: 1
    .uses_dynamic_stack: false
    .vgpr_count:     28
    .vgpr_spill_count: 0
    .wavefront_size: 32
  - .args:
      - .actual_access:  write_only
        .address_space:  global
        .offset:         0
        .size:           8
        .value_kind:     global_buffer
      - .actual_access:  write_only
        .address_space:  global
        .offset:         8
        .size:           8
        .value_kind:     global_buffer
      - .actual_access:  read_only
        .address_space:  global
        .offset:         16
        .size:           8
        .value_kind:     global_buffer
      - .actual_access:  read_only
        .address_space:  global
        .offset:         24
        .size:           8
        .value_kind:     global_buffer
      - .address_space:  global
        .offset:         32
        .size:           8
        .value_kind:     global_buffer
      - .offset:         40
        .size:           4
        .value_kind:     by_value
      - .offset:         44
        .size:           4
        .value_kind:     by_value
      - .address_space:  global
        .offset:         48
        .size:           8
        .value_kind:     global_buffer
      - .offset:         56
        .size:           4
        .value_kind:     hidden_block_count_x
      - .offset:         60
        .size:           4
        .value_kind:     hidden_block_count_y
      - .offset:         64
        .size:           4
        .value_kind:     hidden_block_count_z
      - .offset:         68
        .size:           2
        .value_kind:     hidden_group_size_x
      - .offset:         70
        .size:           2
        .value_kind:     hidden_group_size_y
      - .offset:         72
        .size:           2
        .value_kind:     hidden_group_size_z
      - .offset:         74
        .size:           2
        .value_kind:     hidden_remainder_x
      - .offset:         76
        .size:           2
        .value_kind:     hidden_remainder_y
      - .offset:         78
        .size:           2
        .value_kind:     hidden_remainder_z
      - .offset:         96
        .size:           8
        .value_kind:     hidden_global_offset_x
      - .offset:         104
        .size:           8
        .value_kind:     hidden_global_offset_y
      - .offset:         112
        .size:           8
        .value_kind:     hidden_global_offset_z
      - .offset:         120
        .size:           2
        .value_kind:     hidden_grid_dims
    .group_segment_fixed_size: 272
    .kernarg_segment_align: 8
    .kernarg_segment_size: 312
    .language:       OpenCL C
    .language_version:
      - 2
      - 0
    .max_flat_workgroup_size: 1024
    .name:           _ZN4vllm39rms_norm_dynamic_per_token_quant_kernelIfN3c1015Float8_e4m3fnuzELb1EEEvPT0_PfPKT_S8_PKffiPS6_
    .private_segment_fixed_size: 0
    .sgpr_count:     42
    .sgpr_spill_count: 0
    .symbol:         _ZN4vllm39rms_norm_dynamic_per_token_quant_kernelIfN3c1015Float8_e4m3fnuzELb1EEEvPT0_PfPKT_S8_PKffiPS6_.kd
    .uniform_work_group_size: 1
    .uses_dynamic_stack: false
    .vgpr_count:     28
    .vgpr_spill_count: 0
    .wavefront_size: 32
  - .args:
      - .actual_access:  write_only
        .address_space:  global
        .offset:         0
        .size:           8
        .value_kind:     global_buffer
      - .actual_access:  write_only
        .address_space:  global
        .offset:         8
        .size:           8
        .value_kind:     global_buffer
      - .actual_access:  read_only
        .address_space:  global
        .offset:         16
        .size:           8
        .value_kind:     global_buffer
      - .actual_access:  read_only
        .address_space:  global
        .offset:         24
        .size:           8
        .value_kind:     global_buffer
      - .address_space:  global
        .offset:         32
        .size:           8
        .value_kind:     global_buffer
      - .offset:         40
        .size:           4
        .value_kind:     by_value
      - .offset:         44
        .size:           4
        .value_kind:     by_value
      - .address_space:  global
        .offset:         48
        .size:           8
        .value_kind:     global_buffer
      - .offset:         56
        .size:           4
        .value_kind:     hidden_block_count_x
      - .offset:         60
        .size:           4
        .value_kind:     hidden_block_count_y
      - .offset:         64
        .size:           4
        .value_kind:     hidden_block_count_z
      - .offset:         68
        .size:           2
        .value_kind:     hidden_group_size_x
      - .offset:         70
        .size:           2
        .value_kind:     hidden_group_size_y
      - .offset:         72
        .size:           2
        .value_kind:     hidden_group_size_z
      - .offset:         74
        .size:           2
        .value_kind:     hidden_remainder_x
      - .offset:         76
        .size:           2
        .value_kind:     hidden_remainder_y
      - .offset:         78
        .size:           2
        .value_kind:     hidden_remainder_z
      - .offset:         96
        .size:           8
        .value_kind:     hidden_global_offset_x
      - .offset:         104
        .size:           8
        .value_kind:     hidden_global_offset_y
      - .offset:         112
        .size:           8
        .value_kind:     hidden_global_offset_z
      - .offset:         120
        .size:           2
        .value_kind:     hidden_grid_dims
    .group_segment_fixed_size: 272
    .kernarg_segment_align: 8
    .kernarg_segment_size: 312
    .language:       OpenCL C
    .language_version:
      - 2
      - 0
    .max_flat_workgroup_size: 1024
    .name:           _ZN4vllm39rms_norm_dynamic_per_token_quant_kernelIfaLb1EEEvPT0_PfPKT_S6_PKffiPS4_
    .private_segment_fixed_size: 0
    .sgpr_count:     42
    .sgpr_spill_count: 0
    .symbol:         _ZN4vllm39rms_norm_dynamic_per_token_quant_kernelIfaLb1EEEvPT0_PfPKT_S6_PKffiPS4_.kd
    .uniform_work_group_size: 1
    .uses_dynamic_stack: false
    .vgpr_count:     26
    .vgpr_spill_count: 0
    .wavefront_size: 32
  - .args:
      - .actual_access:  write_only
        .address_space:  global
        .offset:         0
        .size:           8
        .value_kind:     global_buffer
      - .actual_access:  write_only
        .address_space:  global
        .offset:         8
        .size:           8
        .value_kind:     global_buffer
      - .actual_access:  read_only
        .address_space:  global
        .offset:         16
        .size:           8
        .value_kind:     global_buffer
      - .actual_access:  read_only
        .address_space:  global
        .offset:         24
        .size:           8
        .value_kind:     global_buffer
      - .address_space:  global
        .offset:         32
        .size:           8
        .value_kind:     global_buffer
      - .offset:         40
        .size:           4
        .value_kind:     by_value
      - .offset:         44
        .size:           4
        .value_kind:     by_value
      - .actual_access:  read_only
        .address_space:  global
        .offset:         48
        .size:           8
        .value_kind:     global_buffer
      - .offset:         56
        .size:           4
        .value_kind:     hidden_block_count_x
      - .offset:         60
        .size:           4
        .value_kind:     hidden_block_count_y
      - .offset:         64
        .size:           4
        .value_kind:     hidden_block_count_z
      - .offset:         68
        .size:           2
        .value_kind:     hidden_group_size_x
      - .offset:         70
        .size:           2
        .value_kind:     hidden_group_size_y
      - .offset:         72
        .size:           2
        .value_kind:     hidden_group_size_z
      - .offset:         74
        .size:           2
        .value_kind:     hidden_remainder_x
      - .offset:         76
        .size:           2
        .value_kind:     hidden_remainder_y
      - .offset:         78
        .size:           2
        .value_kind:     hidden_remainder_z
      - .offset:         96
        .size:           8
        .value_kind:     hidden_global_offset_x
      - .offset:         104
        .size:           8
        .value_kind:     hidden_global_offset_y
      - .offset:         112
        .size:           8
        .value_kind:     hidden_global_offset_z
      - .offset:         120
        .size:           2
        .value_kind:     hidden_grid_dims
    .group_segment_fixed_size: 272
    .kernarg_segment_align: 8
    .kernarg_segment_size: 312
    .language:       OpenCL C
    .language_version:
      - 2
      - 0
    .max_flat_workgroup_size: 1024
    .name:           _ZN4vllm39rms_norm_dynamic_per_token_quant_kernelIfN3c1013Float8_e4m3fnELb0EEEvPT0_PfPKT_S8_PKffiPS6_
    .private_segment_fixed_size: 0
    .sgpr_count:     39
    .sgpr_spill_count: 0
    .symbol:         _ZN4vllm39rms_norm_dynamic_per_token_quant_kernelIfN3c1013Float8_e4m3fnELb0EEEvPT0_PfPKT_S8_PKffiPS6_.kd
    .uniform_work_group_size: 1
    .uses_dynamic_stack: false
    .vgpr_count:     24
    .vgpr_spill_count: 0
    .wavefront_size: 32
  - .args:
      - .actual_access:  write_only
        .address_space:  global
        .offset:         0
        .size:           8
        .value_kind:     global_buffer
      - .actual_access:  write_only
        .address_space:  global
        .offset:         8
        .size:           8
        .value_kind:     global_buffer
      - .actual_access:  read_only
        .address_space:  global
        .offset:         16
        .size:           8
        .value_kind:     global_buffer
      - .actual_access:  read_only
        .address_space:  global
        .offset:         24
        .size:           8
        .value_kind:     global_buffer
      - .address_space:  global
        .offset:         32
        .size:           8
        .value_kind:     global_buffer
      - .offset:         40
        .size:           4
        .value_kind:     by_value
      - .offset:         44
        .size:           4
        .value_kind:     by_value
      - .actual_access:  read_only
        .address_space:  global
        .offset:         48
        .size:           8
        .value_kind:     global_buffer
      - .offset:         56
        .size:           4
        .value_kind:     hidden_block_count_x
      - .offset:         60
        .size:           4
        .value_kind:     hidden_block_count_y
      - .offset:         64
        .size:           4
        .value_kind:     hidden_block_count_z
      - .offset:         68
        .size:           2
        .value_kind:     hidden_group_size_x
      - .offset:         70
        .size:           2
        .value_kind:     hidden_group_size_y
      - .offset:         72
        .size:           2
        .value_kind:     hidden_group_size_z
      - .offset:         74
        .size:           2
        .value_kind:     hidden_remainder_x
      - .offset:         76
        .size:           2
        .value_kind:     hidden_remainder_y
      - .offset:         78
        .size:           2
        .value_kind:     hidden_remainder_z
      - .offset:         96
        .size:           8
        .value_kind:     hidden_global_offset_x
      - .offset:         104
        .size:           8
        .value_kind:     hidden_global_offset_y
      - .offset:         112
        .size:           8
        .value_kind:     hidden_global_offset_z
      - .offset:         120
        .size:           2
        .value_kind:     hidden_grid_dims
    .group_segment_fixed_size: 272
    .kernarg_segment_align: 8
    .kernarg_segment_size: 312
    .language:       OpenCL C
    .language_version:
      - 2
      - 0
    .max_flat_workgroup_size: 1024
    .name:           _ZN4vllm39rms_norm_dynamic_per_token_quant_kernelIfN3c1015Float8_e4m3fnuzELb0EEEvPT0_PfPKT_S8_PKffiPS6_
    .private_segment_fixed_size: 0
    .sgpr_count:     39
    .sgpr_spill_count: 0
    .symbol:         _ZN4vllm39rms_norm_dynamic_per_token_quant_kernelIfN3c1015Float8_e4m3fnuzELb0EEEvPT0_PfPKT_S8_PKffiPS6_.kd
    .uniform_work_group_size: 1
    .uses_dynamic_stack: false
    .vgpr_count:     24
    .vgpr_spill_count: 0
    .wavefront_size: 32
  - .args:
      - .actual_access:  write_only
        .address_space:  global
        .offset:         0
        .size:           8
        .value_kind:     global_buffer
      - .actual_access:  write_only
        .address_space:  global
        .offset:         8
        .size:           8
        .value_kind:     global_buffer
      - .actual_access:  read_only
        .address_space:  global
        .offset:         16
        .size:           8
        .value_kind:     global_buffer
      - .actual_access:  read_only
        .address_space:  global
        .offset:         24
        .size:           8
        .value_kind:     global_buffer
      - .address_space:  global
        .offset:         32
        .size:           8
        .value_kind:     global_buffer
      - .offset:         40
        .size:           4
        .value_kind:     by_value
      - .offset:         44
        .size:           4
        .value_kind:     by_value
      - .actual_access:  read_only
        .address_space:  global
        .offset:         48
        .size:           8
        .value_kind:     global_buffer
      - .offset:         56
        .size:           4
        .value_kind:     hidden_block_count_x
      - .offset:         60
        .size:           4
        .value_kind:     hidden_block_count_y
      - .offset:         64
        .size:           4
        .value_kind:     hidden_block_count_z
      - .offset:         68
        .size:           2
        .value_kind:     hidden_group_size_x
      - .offset:         70
        .size:           2
        .value_kind:     hidden_group_size_y
      - .offset:         72
        .size:           2
        .value_kind:     hidden_group_size_z
      - .offset:         74
        .size:           2
        .value_kind:     hidden_remainder_x
      - .offset:         76
        .size:           2
        .value_kind:     hidden_remainder_y
      - .offset:         78
        .size:           2
        .value_kind:     hidden_remainder_z
      - .offset:         96
        .size:           8
        .value_kind:     hidden_global_offset_x
      - .offset:         104
        .size:           8
        .value_kind:     hidden_global_offset_y
      - .offset:         112
        .size:           8
        .value_kind:     hidden_global_offset_z
      - .offset:         120
        .size:           2
        .value_kind:     hidden_grid_dims
    .group_segment_fixed_size: 272
    .kernarg_segment_align: 8
    .kernarg_segment_size: 312
    .language:       OpenCL C
    .language_version:
      - 2
      - 0
    .max_flat_workgroup_size: 1024
    .name:           _ZN4vllm39rms_norm_dynamic_per_token_quant_kernelIfaLb0EEEvPT0_PfPKT_S6_PKffiPS4_
    .private_segment_fixed_size: 0
    .sgpr_count:     39
    .sgpr_spill_count: 0
    .symbol:         _ZN4vllm39rms_norm_dynamic_per_token_quant_kernelIfaLb0EEEvPT0_PfPKT_S6_PKffiPS4_.kd
    .uniform_work_group_size: 1
    .uses_dynamic_stack: false
    .vgpr_count:     24
    .vgpr_spill_count: 0
    .wavefront_size: 32
  - .args:
      - .actual_access:  write_only
        .address_space:  global
        .offset:         0
        .size:           8
        .value_kind:     global_buffer
      - .actual_access:  write_only
        .address_space:  global
        .offset:         8
        .size:           8
        .value_kind:     global_buffer
      - .actual_access:  read_only
        .address_space:  global
        .offset:         16
        .size:           8
        .value_kind:     global_buffer
      - .actual_access:  read_only
        .address_space:  global
        .offset:         24
        .size:           8
        .value_kind:     global_buffer
      - .address_space:  global
        .offset:         32
        .size:           8
        .value_kind:     global_buffer
      - .offset:         40
        .size:           4
        .value_kind:     by_value
      - .offset:         44
        .size:           4
        .value_kind:     by_value
      - .address_space:  global
        .offset:         48
        .size:           8
        .value_kind:     global_buffer
      - .offset:         56
        .size:           4
        .value_kind:     hidden_block_count_x
      - .offset:         60
        .size:           4
        .value_kind:     hidden_block_count_y
      - .offset:         64
        .size:           4
        .value_kind:     hidden_block_count_z
      - .offset:         68
        .size:           2
        .value_kind:     hidden_group_size_x
      - .offset:         70
        .size:           2
        .value_kind:     hidden_group_size_y
      - .offset:         72
        .size:           2
        .value_kind:     hidden_group_size_z
      - .offset:         74
        .size:           2
        .value_kind:     hidden_remainder_x
      - .offset:         76
        .size:           2
        .value_kind:     hidden_remainder_y
      - .offset:         78
        .size:           2
        .value_kind:     hidden_remainder_z
      - .offset:         96
        .size:           8
        .value_kind:     hidden_global_offset_x
      - .offset:         104
        .size:           8
        .value_kind:     hidden_global_offset_y
      - .offset:         112
        .size:           8
        .value_kind:     hidden_global_offset_z
      - .offset:         120
        .size:           2
        .value_kind:     hidden_grid_dims
    .group_segment_fixed_size: 272
    .kernarg_segment_align: 8
    .kernarg_segment_size: 312
    .language:       OpenCL C
    .language_version:
      - 2
      - 0
    .max_flat_workgroup_size: 1024
    .name:           _ZN4vllm39rms_norm_dynamic_per_token_quant_kernelIN3c104HalfENS1_13Float8_e4m3fnELb1EEEvPT0_PfPKT_S9_PKffiPS7_
    .private_segment_fixed_size: 0
    .sgpr_count:     42
    .sgpr_spill_count: 0
    .symbol:         _ZN4vllm39rms_norm_dynamic_per_token_quant_kernelIN3c104HalfENS1_13Float8_e4m3fnELb1EEEvPT0_PfPKT_S9_PKffiPS7_.kd
    .uniform_work_group_size: 1
    .uses_dynamic_stack: false
    .vgpr_count:     22
    .vgpr_spill_count: 0
    .wavefront_size: 32
  - .args:
      - .actual_access:  write_only
        .address_space:  global
        .offset:         0
        .size:           8
        .value_kind:     global_buffer
      - .actual_access:  write_only
        .address_space:  global
        .offset:         8
        .size:           8
        .value_kind:     global_buffer
      - .actual_access:  read_only
        .address_space:  global
        .offset:         16
        .size:           8
        .value_kind:     global_buffer
      - .actual_access:  read_only
        .address_space:  global
        .offset:         24
        .size:           8
        .value_kind:     global_buffer
      - .address_space:  global
        .offset:         32
        .size:           8
        .value_kind:     global_buffer
      - .offset:         40
        .size:           4
        .value_kind:     by_value
      - .offset:         44
        .size:           4
        .value_kind:     by_value
      - .address_space:  global
        .offset:         48
        .size:           8
        .value_kind:     global_buffer
      - .offset:         56
        .size:           4
        .value_kind:     hidden_block_count_x
      - .offset:         60
        .size:           4
        .value_kind:     hidden_block_count_y
      - .offset:         64
        .size:           4
        .value_kind:     hidden_block_count_z
      - .offset:         68
        .size:           2
        .value_kind:     hidden_group_size_x
      - .offset:         70
        .size:           2
        .value_kind:     hidden_group_size_y
      - .offset:         72
        .size:           2
        .value_kind:     hidden_group_size_z
      - .offset:         74
        .size:           2
        .value_kind:     hidden_remainder_x
      - .offset:         76
        .size:           2
        .value_kind:     hidden_remainder_y
      - .offset:         78
        .size:           2
        .value_kind:     hidden_remainder_z
      - .offset:         96
        .size:           8
        .value_kind:     hidden_global_offset_x
      - .offset:         104
        .size:           8
        .value_kind:     hidden_global_offset_y
      - .offset:         112
        .size:           8
        .value_kind:     hidden_global_offset_z
      - .offset:         120
        .size:           2
        .value_kind:     hidden_grid_dims
    .group_segment_fixed_size: 272
    .kernarg_segment_align: 8
    .kernarg_segment_size: 312
    .language:       OpenCL C
    .language_version:
      - 2
      - 0
    .max_flat_workgroup_size: 1024
    .name:           _ZN4vllm39rms_norm_dynamic_per_token_quant_kernelIN3c104HalfENS1_15Float8_e4m3fnuzELb1EEEvPT0_PfPKT_S9_PKffiPS7_
    .private_segment_fixed_size: 0
    .sgpr_count:     42
    .sgpr_spill_count: 0
    .symbol:         _ZN4vllm39rms_norm_dynamic_per_token_quant_kernelIN3c104HalfENS1_15Float8_e4m3fnuzELb1EEEvPT0_PfPKT_S9_PKffiPS7_.kd
    .uniform_work_group_size: 1
    .uses_dynamic_stack: false
    .vgpr_count:     22
    .vgpr_spill_count: 0
    .wavefront_size: 32
  - .args:
      - .actual_access:  write_only
        .address_space:  global
        .offset:         0
        .size:           8
        .value_kind:     global_buffer
      - .actual_access:  write_only
        .address_space:  global
        .offset:         8
        .size:           8
        .value_kind:     global_buffer
      - .actual_access:  read_only
        .address_space:  global
        .offset:         16
        .size:           8
        .value_kind:     global_buffer
      - .actual_access:  read_only
        .address_space:  global
        .offset:         24
        .size:           8
        .value_kind:     global_buffer
      - .address_space:  global
        .offset:         32
        .size:           8
        .value_kind:     global_buffer
      - .offset:         40
        .size:           4
        .value_kind:     by_value
      - .offset:         44
        .size:           4
        .value_kind:     by_value
      - .address_space:  global
        .offset:         48
        .size:           8
        .value_kind:     global_buffer
      - .offset:         56
        .size:           4
        .value_kind:     hidden_block_count_x
      - .offset:         60
        .size:           4
        .value_kind:     hidden_block_count_y
      - .offset:         64
        .size:           4
        .value_kind:     hidden_block_count_z
      - .offset:         68
        .size:           2
        .value_kind:     hidden_group_size_x
      - .offset:         70
        .size:           2
        .value_kind:     hidden_group_size_y
      - .offset:         72
        .size:           2
        .value_kind:     hidden_group_size_z
      - .offset:         74
        .size:           2
        .value_kind:     hidden_remainder_x
      - .offset:         76
        .size:           2
        .value_kind:     hidden_remainder_y
      - .offset:         78
        .size:           2
        .value_kind:     hidden_remainder_z
      - .offset:         96
        .size:           8
        .value_kind:     hidden_global_offset_x
      - .offset:         104
        .size:           8
        .value_kind:     hidden_global_offset_y
      - .offset:         112
        .size:           8
        .value_kind:     hidden_global_offset_z
      - .offset:         120
        .size:           2
        .value_kind:     hidden_grid_dims
    .group_segment_fixed_size: 272
    .kernarg_segment_align: 8
    .kernarg_segment_size: 312
    .language:       OpenCL C
    .language_version:
      - 2
      - 0
    .max_flat_workgroup_size: 1024
    .name:           _ZN4vllm39rms_norm_dynamic_per_token_quant_kernelIN3c104HalfEaLb1EEEvPT0_PfPKT_S8_PKffiPS6_
    .private_segment_fixed_size: 0
    .sgpr_count:     42
    .sgpr_spill_count: 0
    .symbol:         _ZN4vllm39rms_norm_dynamic_per_token_quant_kernelIN3c104HalfEaLb1EEEvPT0_PfPKT_S8_PKffiPS6_.kd
    .uniform_work_group_size: 1
    .uses_dynamic_stack: false
    .vgpr_count:     22
    .vgpr_spill_count: 0
    .wavefront_size: 32
  - .args:
      - .actual_access:  write_only
        .address_space:  global
        .offset:         0
        .size:           8
        .value_kind:     global_buffer
      - .actual_access:  write_only
        .address_space:  global
        .offset:         8
        .size:           8
        .value_kind:     global_buffer
      - .actual_access:  read_only
        .address_space:  global
        .offset:         16
        .size:           8
        .value_kind:     global_buffer
      - .actual_access:  read_only
        .address_space:  global
        .offset:         24
        .size:           8
        .value_kind:     global_buffer
      - .address_space:  global
        .offset:         32
        .size:           8
        .value_kind:     global_buffer
      - .offset:         40
        .size:           4
        .value_kind:     by_value
      - .offset:         44
        .size:           4
        .value_kind:     by_value
      - .actual_access:  read_only
        .address_space:  global
        .offset:         48
        .size:           8
        .value_kind:     global_buffer
      - .offset:         56
        .size:           4
        .value_kind:     hidden_block_count_x
      - .offset:         60
        .size:           4
        .value_kind:     hidden_block_count_y
      - .offset:         64
        .size:           4
        .value_kind:     hidden_block_count_z
      - .offset:         68
        .size:           2
        .value_kind:     hidden_group_size_x
      - .offset:         70
        .size:           2
        .value_kind:     hidden_group_size_y
      - .offset:         72
        .size:           2
        .value_kind:     hidden_group_size_z
      - .offset:         74
        .size:           2
        .value_kind:     hidden_remainder_x
      - .offset:         76
        .size:           2
        .value_kind:     hidden_remainder_y
      - .offset:         78
        .size:           2
        .value_kind:     hidden_remainder_z
      - .offset:         96
        .size:           8
        .value_kind:     hidden_global_offset_x
      - .offset:         104
        .size:           8
        .value_kind:     hidden_global_offset_y
      - .offset:         112
        .size:           8
        .value_kind:     hidden_global_offset_z
      - .offset:         120
        .size:           2
        .value_kind:     hidden_grid_dims
    .group_segment_fixed_size: 272
    .kernarg_segment_align: 8
    .kernarg_segment_size: 312
    .language:       OpenCL C
    .language_version:
      - 2
      - 0
    .max_flat_workgroup_size: 1024
    .name:           _ZN4vllm39rms_norm_dynamic_per_token_quant_kernelIN3c104HalfENS1_13Float8_e4m3fnELb0EEEvPT0_PfPKT_S9_PKffiPS7_
    .private_segment_fixed_size: 0
    .sgpr_count:     39
    .sgpr_spill_count: 0
    .symbol:         _ZN4vllm39rms_norm_dynamic_per_token_quant_kernelIN3c104HalfENS1_13Float8_e4m3fnELb0EEEvPT0_PfPKT_S9_PKffiPS7_.kd
    .uniform_work_group_size: 1
    .uses_dynamic_stack: false
    .vgpr_count:     24
    .vgpr_spill_count: 0
    .wavefront_size: 32
  - .args:
      - .actual_access:  write_only
        .address_space:  global
        .offset:         0
        .size:           8
        .value_kind:     global_buffer
      - .actual_access:  write_only
        .address_space:  global
        .offset:         8
        .size:           8
        .value_kind:     global_buffer
      - .actual_access:  read_only
        .address_space:  global
        .offset:         16
        .size:           8
        .value_kind:     global_buffer
      - .actual_access:  read_only
        .address_space:  global
        .offset:         24
        .size:           8
        .value_kind:     global_buffer
      - .address_space:  global
        .offset:         32
        .size:           8
        .value_kind:     global_buffer
      - .offset:         40
        .size:           4
        .value_kind:     by_value
      - .offset:         44
        .size:           4
        .value_kind:     by_value
      - .actual_access:  read_only
        .address_space:  global
        .offset:         48
        .size:           8
        .value_kind:     global_buffer
      - .offset:         56
        .size:           4
        .value_kind:     hidden_block_count_x
      - .offset:         60
        .size:           4
        .value_kind:     hidden_block_count_y
      - .offset:         64
        .size:           4
        .value_kind:     hidden_block_count_z
      - .offset:         68
        .size:           2
        .value_kind:     hidden_group_size_x
      - .offset:         70
        .size:           2
        .value_kind:     hidden_group_size_y
      - .offset:         72
        .size:           2
        .value_kind:     hidden_group_size_z
      - .offset:         74
        .size:           2
        .value_kind:     hidden_remainder_x
      - .offset:         76
        .size:           2
        .value_kind:     hidden_remainder_y
      - .offset:         78
        .size:           2
        .value_kind:     hidden_remainder_z
      - .offset:         96
        .size:           8
        .value_kind:     hidden_global_offset_x
      - .offset:         104
        .size:           8
        .value_kind:     hidden_global_offset_y
      - .offset:         112
        .size:           8
        .value_kind:     hidden_global_offset_z
      - .offset:         120
        .size:           2
        .value_kind:     hidden_grid_dims
    .group_segment_fixed_size: 272
    .kernarg_segment_align: 8
    .kernarg_segment_size: 312
    .language:       OpenCL C
    .language_version:
      - 2
      - 0
    .max_flat_workgroup_size: 1024
    .name:           _ZN4vllm39rms_norm_dynamic_per_token_quant_kernelIN3c104HalfENS1_15Float8_e4m3fnuzELb0EEEvPT0_PfPKT_S9_PKffiPS7_
    .private_segment_fixed_size: 0
    .sgpr_count:     39
    .sgpr_spill_count: 0
    .symbol:         _ZN4vllm39rms_norm_dynamic_per_token_quant_kernelIN3c104HalfENS1_15Float8_e4m3fnuzELb0EEEvPT0_PfPKT_S9_PKffiPS7_.kd
    .uniform_work_group_size: 1
    .uses_dynamic_stack: false
    .vgpr_count:     24
    .vgpr_spill_count: 0
    .wavefront_size: 32
  - .args:
      - .actual_access:  write_only
        .address_space:  global
        .offset:         0
        .size:           8
        .value_kind:     global_buffer
      - .actual_access:  write_only
        .address_space:  global
        .offset:         8
        .size:           8
        .value_kind:     global_buffer
      - .actual_access:  read_only
        .address_space:  global
        .offset:         16
        .size:           8
        .value_kind:     global_buffer
      - .actual_access:  read_only
        .address_space:  global
        .offset:         24
        .size:           8
        .value_kind:     global_buffer
      - .address_space:  global
        .offset:         32
        .size:           8
        .value_kind:     global_buffer
      - .offset:         40
        .size:           4
        .value_kind:     by_value
      - .offset:         44
        .size:           4
        .value_kind:     by_value
      - .actual_access:  read_only
        .address_space:  global
        .offset:         48
        .size:           8
        .value_kind:     global_buffer
      - .offset:         56
        .size:           4
        .value_kind:     hidden_block_count_x
      - .offset:         60
        .size:           4
        .value_kind:     hidden_block_count_y
      - .offset:         64
        .size:           4
        .value_kind:     hidden_block_count_z
      - .offset:         68
        .size:           2
        .value_kind:     hidden_group_size_x
      - .offset:         70
        .size:           2
        .value_kind:     hidden_group_size_y
      - .offset:         72
        .size:           2
        .value_kind:     hidden_group_size_z
      - .offset:         74
        .size:           2
        .value_kind:     hidden_remainder_x
      - .offset:         76
        .size:           2
        .value_kind:     hidden_remainder_y
      - .offset:         78
        .size:           2
        .value_kind:     hidden_remainder_z
      - .offset:         96
        .size:           8
        .value_kind:     hidden_global_offset_x
      - .offset:         104
        .size:           8
        .value_kind:     hidden_global_offset_y
      - .offset:         112
        .size:           8
        .value_kind:     hidden_global_offset_z
      - .offset:         120
        .size:           2
        .value_kind:     hidden_grid_dims
    .group_segment_fixed_size: 272
    .kernarg_segment_align: 8
    .kernarg_segment_size: 312
    .language:       OpenCL C
    .language_version:
      - 2
      - 0
    .max_flat_workgroup_size: 1024
    .name:           _ZN4vllm39rms_norm_dynamic_per_token_quant_kernelIN3c104HalfEaLb0EEEvPT0_PfPKT_S8_PKffiPS6_
    .private_segment_fixed_size: 0
    .sgpr_count:     39
    .sgpr_spill_count: 0
    .symbol:         _ZN4vllm39rms_norm_dynamic_per_token_quant_kernelIN3c104HalfEaLb0EEEvPT0_PfPKT_S8_PKffiPS6_.kd
    .uniform_work_group_size: 1
    .uses_dynamic_stack: false
    .vgpr_count:     24
    .vgpr_spill_count: 0
    .wavefront_size: 32
  - .args:
      - .actual_access:  write_only
        .address_space:  global
        .offset:         0
        .size:           8
        .value_kind:     global_buffer
      - .actual_access:  write_only
        .address_space:  global
        .offset:         8
        .size:           8
        .value_kind:     global_buffer
      - .actual_access:  read_only
        .address_space:  global
        .offset:         16
        .size:           8
        .value_kind:     global_buffer
      - .actual_access:  read_only
        .address_space:  global
        .offset:         24
        .size:           8
        .value_kind:     global_buffer
      - .address_space:  global
        .offset:         32
        .size:           8
        .value_kind:     global_buffer
      - .offset:         40
        .size:           4
        .value_kind:     by_value
      - .offset:         44
        .size:           4
        .value_kind:     by_value
      - .address_space:  global
        .offset:         48
        .size:           8
        .value_kind:     global_buffer
      - .offset:         56
        .size:           4
        .value_kind:     hidden_block_count_x
      - .offset:         60
        .size:           4
        .value_kind:     hidden_block_count_y
      - .offset:         64
        .size:           4
        .value_kind:     hidden_block_count_z
      - .offset:         68
        .size:           2
        .value_kind:     hidden_group_size_x
      - .offset:         70
        .size:           2
        .value_kind:     hidden_group_size_y
      - .offset:         72
        .size:           2
        .value_kind:     hidden_group_size_z
      - .offset:         74
        .size:           2
        .value_kind:     hidden_remainder_x
      - .offset:         76
        .size:           2
        .value_kind:     hidden_remainder_y
      - .offset:         78
        .size:           2
        .value_kind:     hidden_remainder_z
      - .offset:         96
        .size:           8
        .value_kind:     hidden_global_offset_x
      - .offset:         104
        .size:           8
        .value_kind:     hidden_global_offset_y
      - .offset:         112
        .size:           8
        .value_kind:     hidden_global_offset_z
      - .offset:         120
        .size:           2
        .value_kind:     hidden_grid_dims
    .group_segment_fixed_size: 272
    .kernarg_segment_align: 8
    .kernarg_segment_size: 312
    .language:       OpenCL C
    .language_version:
      - 2
      - 0
    .max_flat_workgroup_size: 1024
    .name:           _ZN4vllm39rms_norm_dynamic_per_token_quant_kernelIN3c108BFloat16ENS1_13Float8_e4m3fnELb1EEEvPT0_PfPKT_S9_PKffiPS7_
    .private_segment_fixed_size: 0
    .sgpr_count:     42
    .sgpr_spill_count: 0
    .symbol:         _ZN4vllm39rms_norm_dynamic_per_token_quant_kernelIN3c108BFloat16ENS1_13Float8_e4m3fnELb1EEEvPT0_PfPKT_S9_PKffiPS7_.kd
    .uniform_work_group_size: 1
    .uses_dynamic_stack: false
    .vgpr_count:     24
    .vgpr_spill_count: 0
    .wavefront_size: 32
  - .args:
      - .actual_access:  write_only
        .address_space:  global
        .offset:         0
        .size:           8
        .value_kind:     global_buffer
      - .actual_access:  write_only
        .address_space:  global
        .offset:         8
        .size:           8
        .value_kind:     global_buffer
      - .actual_access:  read_only
        .address_space:  global
        .offset:         16
        .size:           8
        .value_kind:     global_buffer
      - .actual_access:  read_only
        .address_space:  global
        .offset:         24
        .size:           8
        .value_kind:     global_buffer
      - .address_space:  global
        .offset:         32
        .size:           8
        .value_kind:     global_buffer
      - .offset:         40
        .size:           4
        .value_kind:     by_value
      - .offset:         44
        .size:           4
        .value_kind:     by_value
      - .address_space:  global
        .offset:         48
        .size:           8
        .value_kind:     global_buffer
      - .offset:         56
        .size:           4
        .value_kind:     hidden_block_count_x
      - .offset:         60
        .size:           4
        .value_kind:     hidden_block_count_y
      - .offset:         64
        .size:           4
        .value_kind:     hidden_block_count_z
      - .offset:         68
        .size:           2
        .value_kind:     hidden_group_size_x
      - .offset:         70
        .size:           2
        .value_kind:     hidden_group_size_y
      - .offset:         72
        .size:           2
        .value_kind:     hidden_group_size_z
      - .offset:         74
        .size:           2
        .value_kind:     hidden_remainder_x
      - .offset:         76
        .size:           2
        .value_kind:     hidden_remainder_y
      - .offset:         78
        .size:           2
        .value_kind:     hidden_remainder_z
      - .offset:         96
        .size:           8
        .value_kind:     hidden_global_offset_x
      - .offset:         104
        .size:           8
        .value_kind:     hidden_global_offset_y
      - .offset:         112
        .size:           8
        .value_kind:     hidden_global_offset_z
      - .offset:         120
        .size:           2
        .value_kind:     hidden_grid_dims
    .group_segment_fixed_size: 272
    .kernarg_segment_align: 8
    .kernarg_segment_size: 312
    .language:       OpenCL C
    .language_version:
      - 2
      - 0
    .max_flat_workgroup_size: 1024
    .name:           _ZN4vllm39rms_norm_dynamic_per_token_quant_kernelIN3c108BFloat16ENS1_15Float8_e4m3fnuzELb1EEEvPT0_PfPKT_S9_PKffiPS7_
    .private_segment_fixed_size: 0
    .sgpr_count:     42
    .sgpr_spill_count: 0
    .symbol:         _ZN4vllm39rms_norm_dynamic_per_token_quant_kernelIN3c108BFloat16ENS1_15Float8_e4m3fnuzELb1EEEvPT0_PfPKT_S9_PKffiPS7_.kd
    .uniform_work_group_size: 1
    .uses_dynamic_stack: false
    .vgpr_count:     24
    .vgpr_spill_count: 0
    .wavefront_size: 32
  - .args:
      - .actual_access:  write_only
        .address_space:  global
        .offset:         0
        .size:           8
        .value_kind:     global_buffer
      - .actual_access:  write_only
        .address_space:  global
        .offset:         8
        .size:           8
        .value_kind:     global_buffer
      - .actual_access:  read_only
        .address_space:  global
        .offset:         16
        .size:           8
        .value_kind:     global_buffer
      - .actual_access:  read_only
        .address_space:  global
        .offset:         24
        .size:           8
        .value_kind:     global_buffer
      - .address_space:  global
        .offset:         32
        .size:           8
        .value_kind:     global_buffer
      - .offset:         40
        .size:           4
        .value_kind:     by_value
      - .offset:         44
        .size:           4
        .value_kind:     by_value
      - .address_space:  global
        .offset:         48
        .size:           8
        .value_kind:     global_buffer
      - .offset:         56
        .size:           4
        .value_kind:     hidden_block_count_x
      - .offset:         60
        .size:           4
        .value_kind:     hidden_block_count_y
      - .offset:         64
        .size:           4
        .value_kind:     hidden_block_count_z
      - .offset:         68
        .size:           2
        .value_kind:     hidden_group_size_x
      - .offset:         70
        .size:           2
        .value_kind:     hidden_group_size_y
      - .offset:         72
        .size:           2
        .value_kind:     hidden_group_size_z
      - .offset:         74
        .size:           2
        .value_kind:     hidden_remainder_x
      - .offset:         76
        .size:           2
        .value_kind:     hidden_remainder_y
      - .offset:         78
        .size:           2
        .value_kind:     hidden_remainder_z
      - .offset:         96
        .size:           8
        .value_kind:     hidden_global_offset_x
      - .offset:         104
        .size:           8
        .value_kind:     hidden_global_offset_y
      - .offset:         112
        .size:           8
        .value_kind:     hidden_global_offset_z
      - .offset:         120
        .size:           2
        .value_kind:     hidden_grid_dims
    .group_segment_fixed_size: 272
    .kernarg_segment_align: 8
    .kernarg_segment_size: 312
    .language:       OpenCL C
    .language_version:
      - 2
      - 0
    .max_flat_workgroup_size: 1024
    .name:           _ZN4vllm39rms_norm_dynamic_per_token_quant_kernelIN3c108BFloat16EaLb1EEEvPT0_PfPKT_S8_PKffiPS6_
    .private_segment_fixed_size: 0
    .sgpr_count:     42
    .sgpr_spill_count: 0
    .symbol:         _ZN4vllm39rms_norm_dynamic_per_token_quant_kernelIN3c108BFloat16EaLb1EEEvPT0_PfPKT_S8_PKffiPS6_.kd
    .uniform_work_group_size: 1
    .uses_dynamic_stack: false
    .vgpr_count:     25
    .vgpr_spill_count: 0
    .wavefront_size: 32
  - .args:
      - .actual_access:  write_only
        .address_space:  global
        .offset:         0
        .size:           8
        .value_kind:     global_buffer
      - .actual_access:  write_only
        .address_space:  global
        .offset:         8
        .size:           8
        .value_kind:     global_buffer
      - .actual_access:  read_only
        .address_space:  global
        .offset:         16
        .size:           8
        .value_kind:     global_buffer
      - .actual_access:  read_only
        .address_space:  global
        .offset:         24
        .size:           8
        .value_kind:     global_buffer
      - .address_space:  global
        .offset:         32
        .size:           8
        .value_kind:     global_buffer
      - .offset:         40
        .size:           4
        .value_kind:     by_value
      - .offset:         44
        .size:           4
        .value_kind:     by_value
      - .actual_access:  read_only
        .address_space:  global
        .offset:         48
        .size:           8
        .value_kind:     global_buffer
      - .offset:         56
        .size:           4
        .value_kind:     hidden_block_count_x
      - .offset:         60
        .size:           4
        .value_kind:     hidden_block_count_y
      - .offset:         64
        .size:           4
        .value_kind:     hidden_block_count_z
      - .offset:         68
        .size:           2
        .value_kind:     hidden_group_size_x
      - .offset:         70
        .size:           2
        .value_kind:     hidden_group_size_y
      - .offset:         72
        .size:           2
        .value_kind:     hidden_group_size_z
      - .offset:         74
        .size:           2
        .value_kind:     hidden_remainder_x
      - .offset:         76
        .size:           2
        .value_kind:     hidden_remainder_y
      - .offset:         78
        .size:           2
        .value_kind:     hidden_remainder_z
      - .offset:         96
        .size:           8
        .value_kind:     hidden_global_offset_x
      - .offset:         104
        .size:           8
        .value_kind:     hidden_global_offset_y
      - .offset:         112
        .size:           8
        .value_kind:     hidden_global_offset_z
      - .offset:         120
        .size:           2
        .value_kind:     hidden_grid_dims
    .group_segment_fixed_size: 272
    .kernarg_segment_align: 8
    .kernarg_segment_size: 312
    .language:       OpenCL C
    .language_version:
      - 2
      - 0
    .max_flat_workgroup_size: 1024
    .name:           _ZN4vllm39rms_norm_dynamic_per_token_quant_kernelIN3c108BFloat16ENS1_13Float8_e4m3fnELb0EEEvPT0_PfPKT_S9_PKffiPS7_
    .private_segment_fixed_size: 0
    .sgpr_count:     39
    .sgpr_spill_count: 0
    .symbol:         _ZN4vllm39rms_norm_dynamic_per_token_quant_kernelIN3c108BFloat16ENS1_13Float8_e4m3fnELb0EEEvPT0_PfPKT_S9_PKffiPS7_.kd
    .uniform_work_group_size: 1
    .uses_dynamic_stack: false
    .vgpr_count:     24
    .vgpr_spill_count: 0
    .wavefront_size: 32
  - .args:
      - .actual_access:  write_only
        .address_space:  global
        .offset:         0
        .size:           8
        .value_kind:     global_buffer
      - .actual_access:  write_only
        .address_space:  global
        .offset:         8
        .size:           8
        .value_kind:     global_buffer
      - .actual_access:  read_only
        .address_space:  global
        .offset:         16
        .size:           8
        .value_kind:     global_buffer
      - .actual_access:  read_only
        .address_space:  global
        .offset:         24
        .size:           8
        .value_kind:     global_buffer
      - .address_space:  global
        .offset:         32
        .size:           8
        .value_kind:     global_buffer
      - .offset:         40
        .size:           4
        .value_kind:     by_value
      - .offset:         44
        .size:           4
        .value_kind:     by_value
      - .actual_access:  read_only
        .address_space:  global
        .offset:         48
        .size:           8
        .value_kind:     global_buffer
      - .offset:         56
        .size:           4
        .value_kind:     hidden_block_count_x
      - .offset:         60
        .size:           4
        .value_kind:     hidden_block_count_y
      - .offset:         64
        .size:           4
        .value_kind:     hidden_block_count_z
      - .offset:         68
        .size:           2
        .value_kind:     hidden_group_size_x
      - .offset:         70
        .size:           2
        .value_kind:     hidden_group_size_y
      - .offset:         72
        .size:           2
        .value_kind:     hidden_group_size_z
      - .offset:         74
        .size:           2
        .value_kind:     hidden_remainder_x
      - .offset:         76
        .size:           2
        .value_kind:     hidden_remainder_y
      - .offset:         78
        .size:           2
        .value_kind:     hidden_remainder_z
      - .offset:         96
        .size:           8
        .value_kind:     hidden_global_offset_x
      - .offset:         104
        .size:           8
        .value_kind:     hidden_global_offset_y
      - .offset:         112
        .size:           8
        .value_kind:     hidden_global_offset_z
      - .offset:         120
        .size:           2
        .value_kind:     hidden_grid_dims
    .group_segment_fixed_size: 272
    .kernarg_segment_align: 8
    .kernarg_segment_size: 312
    .language:       OpenCL C
    .language_version:
      - 2
      - 0
    .max_flat_workgroup_size: 1024
    .name:           _ZN4vllm39rms_norm_dynamic_per_token_quant_kernelIN3c108BFloat16ENS1_15Float8_e4m3fnuzELb0EEEvPT0_PfPKT_S9_PKffiPS7_
    .private_segment_fixed_size: 0
    .sgpr_count:     39
    .sgpr_spill_count: 0
    .symbol:         _ZN4vllm39rms_norm_dynamic_per_token_quant_kernelIN3c108BFloat16ENS1_15Float8_e4m3fnuzELb0EEEvPT0_PfPKT_S9_PKffiPS7_.kd
    .uniform_work_group_size: 1
    .uses_dynamic_stack: false
    .vgpr_count:     24
    .vgpr_spill_count: 0
    .wavefront_size: 32
  - .args:
      - .actual_access:  write_only
        .address_space:  global
        .offset:         0
        .size:           8
        .value_kind:     global_buffer
      - .actual_access:  write_only
        .address_space:  global
        .offset:         8
        .size:           8
        .value_kind:     global_buffer
      - .actual_access:  read_only
        .address_space:  global
        .offset:         16
        .size:           8
        .value_kind:     global_buffer
      - .actual_access:  read_only
        .address_space:  global
        .offset:         24
        .size:           8
        .value_kind:     global_buffer
      - .address_space:  global
        .offset:         32
        .size:           8
        .value_kind:     global_buffer
      - .offset:         40
        .size:           4
        .value_kind:     by_value
      - .offset:         44
        .size:           4
        .value_kind:     by_value
      - .actual_access:  read_only
        .address_space:  global
        .offset:         48
        .size:           8
        .value_kind:     global_buffer
      - .offset:         56
        .size:           4
        .value_kind:     hidden_block_count_x
      - .offset:         60
        .size:           4
        .value_kind:     hidden_block_count_y
      - .offset:         64
        .size:           4
        .value_kind:     hidden_block_count_z
      - .offset:         68
        .size:           2
        .value_kind:     hidden_group_size_x
      - .offset:         70
        .size:           2
        .value_kind:     hidden_group_size_y
      - .offset:         72
        .size:           2
        .value_kind:     hidden_group_size_z
      - .offset:         74
        .size:           2
        .value_kind:     hidden_remainder_x
      - .offset:         76
        .size:           2
        .value_kind:     hidden_remainder_y
      - .offset:         78
        .size:           2
        .value_kind:     hidden_remainder_z
      - .offset:         96
        .size:           8
        .value_kind:     hidden_global_offset_x
      - .offset:         104
        .size:           8
        .value_kind:     hidden_global_offset_y
      - .offset:         112
        .size:           8
        .value_kind:     hidden_global_offset_z
      - .offset:         120
        .size:           2
        .value_kind:     hidden_grid_dims
    .group_segment_fixed_size: 272
    .kernarg_segment_align: 8
    .kernarg_segment_size: 312
    .language:       OpenCL C
    .language_version:
      - 2
      - 0
    .max_flat_workgroup_size: 1024
    .name:           _ZN4vllm39rms_norm_dynamic_per_token_quant_kernelIN3c108BFloat16EaLb0EEEvPT0_PfPKT_S8_PKffiPS6_
    .private_segment_fixed_size: 0
    .sgpr_count:     39
    .sgpr_spill_count: 0
    .symbol:         _ZN4vllm39rms_norm_dynamic_per_token_quant_kernelIN3c108BFloat16EaLb0EEEvPT0_PfPKT_S8_PKffiPS6_.kd
    .uniform_work_group_size: 1
    .uses_dynamic_stack: false
    .vgpr_count:     24
    .vgpr_spill_count: 0
    .wavefront_size: 32
amdhsa.target:   amdgcn-amd-amdhsa--gfx1250
amdhsa.version:
  - 1
  - 2
...

	.end_amdgpu_metadata
